;; amdgpu-corpus repo=ROCm/aiter kind=harvested arch=n/a opt=n/a

/root/src/amdgpu-assembly/repos/ROCm__aiter/hsa/gfx950/f4gemm/f4gemm_bf16_per1x32Fp4_BpreShuffle_256x256.co:	file format elf64-amdgpu

Disassembly of section .text:

0000000000002c00 <_ZN5aiter42f4gemm_bf16_per1x32Fp4_BpreShuffle_256x256E>:
	s_and_b32 s1, s1, 0xffff                                   // 000000002C00: 8601FF01 0000FFFF
	s_mov_b32 s56, s4                                          // 000000002C08: BEB80004
	s_load_dwordx2 s[4:5], s[0:1], 0x0                         // 000000002C0C: C0060100 00000000
	s_load_dwordx2 s[8:9], s[0:1], 0x10                        // 000000002C14: C0060200 00000010
	s_load_dwordx2 s[12:13], s[0:1], 0x20                      // 000000002C1C: C0060300 00000020
	s_load_dwordx2 s[16:17], s[0:1], 0x30                      // 000000002C24: C0060400 00000030
	s_load_dword s38, s[0:1], 0x40                             // 000000002C2C: C0020980 00000040
	s_load_dword s39, s[0:1], 0x50                             // 000000002C34: C00209C0 00000050
	s_load_dword s40, s[0:1], 0x80                             // 000000002C3C: C0020A00 00000080
	s_load_dword s41, s[0:1], 0xa0                             // 000000002C44: C0020A40 000000A0
	s_load_dword s42, s[0:1], 0xc0                             // 000000002C4C: C0020A80 000000C0
	s_load_dword s43, s[0:1], 0xe0                             // 000000002C54: C0020AC0 000000E0
	s_load_dword s44, s[0:1], 0xf0                             // 000000002C5C: C0020B00 000000F0
	s_load_dword s45, s[0:1], 0x100                            // 000000002C64: C0020B40 00000100
	s_load_dwordx2 s[20:21], s[0:1], 0x110                     // 000000002C6C: C0060500 00000110
	s_load_dwordx2 s[24:25], s[0:1], 0x120                     // 000000002C74: C0060600 00000120
	s_load_dword s36, s[0:1], 0x130                            // 000000002C7C: C0020900 00000130
	s_load_dword s37, s[0:1], 0x150                            // 000000002C84: C0020940 00000150
	s_load_dword s57, s[0:1], 0x170                            // 000000002C8C: C0020E40 00000170
	v_lshrrev_b32_e32 v1, 10, v0                               // 000000002C94: 2002008A
	v_lshrrev_b32_e32 v2, 10, v1                               // 000000002C98: 2004028A
	v_and_b32_e32 v2, 0x3ff, v2                                // 000000002C9C: 260404FF 000003FF
	v_and_b32_e32 v1, 0x3ff, v1                                // 000000002CA4: 260202FF 000003FF
	v_and_b32_e32 v0, 0x3ff, v0                                // 000000002CAC: 260000FF 000003FF
	v_lshrrev_b32_e32 v3, 6, v0                                // 000000002CB4: 20060086
	v_and_b32_e32 v0, 63, v0                                   // 000000002CB8: 260000BF
	s_mov_b32 s46, s2                                          // 000000002CBC: BEAE0002
	s_mov_b32 s47, s3                                          // 000000002CC0: BEAF0003
	v_readfirstlane_b32 s49, v3                                // 000000002CC4: 7E620503
	s_waitcnt lgkmcnt(0)                                       // 000000002CC8: BF8CC07F
	s_add_u32 s55, s44, 0xff                                   // 000000002CCC: 8037FF2C 000000FF
	s_lshr_b32 s54, s55, 8                                     // 000000002CD4: 8F368837
	s_mul_i32 s48, s54, s47                                    // 000000002CD8: 92302F36
	s_add_i32 s48, s48, s46                                    // 000000002CDC: 81302E30
	s_add_u32 s55, s43, 0xff                                   // 000000002CE0: 8037FF2B 000000FF
	s_lshr_b32 s52, s55, 8                                     // 000000002CE8: 8F348837
	s_lshl_b32 s52, s52, 5                                     // 000000002CEC: 8E348534
	s_mov_b32 s46, 0                                           // 000000002CF0: BEAE0080

0000000000002cf4 <label_003D>:
	s_cmp_lt_i32 s48, s52                                      // 000000002CF4: BF043430
	s_cbranch_scc1 label_0042                                  // 000000002CF8: BF850003
	s_sub_i32 s48, s48, s52                                    // 000000002CFC: 81B03430
	s_add_i32 s46, s46, 32                                     // 000000002D00: 812EA02E
	s_branch label_003D                                        // 000000002D04: BF82FFFB

0000000000002d08 <label_0042>:
	s_sub_i32 s54, s54, s46                                    // 000000002D08: 81B62E36
	s_cmp_lt_i32 s54, 32                                       // 000000002D0C: BF04A036
	s_cbranch_scc1 label_0048                                  // 000000002D10: BF850003
	s_lshr_b32 s47, s48, 5                                     // 000000002D14: 8F2F8530
	s_and_b32 s52, s48, 31                                     // 000000002D18: 86349F30
	s_branch label_0068                                        // 000000002D1C: BF820020

0000000000002d20 <label_0048>:
	v_cvt_f32_u32_e32 v4, s54                                  // 000000002D20: 7E080C36
	s_sub_i32 s47, 0, s54                                      // 000000002D24: 81AF3680
	v_rcp_iflag_f32_e32 v4, v4                                 // 000000002D28: 7E084704
	s_nop 0                                                    // 000000002D2C: BF800000
	v_mul_f32_e32 v4, 0x4f7ffffe, v4                           // 000000002D30: 0A0808FF 4F7FFFFE
	v_cvt_u32_f32_e32 v4, v4                                   // 000000002D38: 7E080F04
	v_mul_lo_u32 v5, s47, v4                                   // 000000002D3C: D2850005 0002082F
	v_mul_hi_u32 v5, v4, v5                                    // 000000002D44: D2860005 00020B04
	v_add_u32_e32 v4, v4, v5                                   // 000000002D4C: 68080B04
	v_mul_hi_u32 v4, s48, v4                                   // 000000002D50: D2860004 00020830
	v_mul_lo_u32 v5, v4, s54                                   // 000000002D58: D2850005 00006D04
	v_sub_u32_e32 v7, s48, v5                                  // 000000002D60: 6A0E0A30
	v_add_u32_e32 v6, 1, v4                                    // 000000002D64: 680C0881
	v_cmp_le_u32_e32 vcc, s54, v7                              // 000000002D68: 7D960E36
	v_subrev_u32_e32 v5, s54, v7                               // 000000002D6C: 6C0A0E36
	s_nop 0                                                    // 000000002D70: BF800000
	v_cndmask_b32_e32 v4, v4, v6, vcc                          // 000000002D74: 00080D04
	v_cndmask_b32_e32 v7, v7, v5, vcc                          // 000000002D78: 000E0B07
	v_add_u32_e32 v5, 1, v4                                    // 000000002D7C: 680A0881
	v_cmp_le_u32_e32 vcc, s54, v7                              // 000000002D80: 7D960E36
	s_nop 1                                                    // 000000002D84: BF800001
	v_cndmask_b32_e32 v7, v4, v5, vcc                          // 000000002D88: 000E0B04
	s_nop 3                                                    // 000000002D8C: BF800003
	v_readfirstlane_b32 s47, v7                                // 000000002D90: 7E5E0507
	s_nop 3                                                    // 000000002D94: BF800003
	s_mul_i32 s52, s54, s47                                    // 000000002D98: 92342F36
	s_sub_i32 s52, s48, s52                                    // 000000002D9C: 81B43430

0000000000002da0 <label_0068>:
	s_add_i32 s46, s52, s46                                    // 000000002DA0: 812E2E34
	s_mov_b32 s6, -16                                          // 000000002DA4: BE8600D0
	s_mov_b32 s10, -16                                         // 000000002DA8: BE8A00D0
	s_mov_b32 s18, -16                                         // 000000002DAC: BE9200D0
	s_mov_b32 s14, -16                                         // 000000002DB0: BE8E00D0
	s_mov_b32 s7, 0x20000                                      // 000000002DB4: BE8700FF 00020000
	s_mov_b32 s11, 0x20000                                     // 000000002DBC: BE8B00FF 00020000
	s_mov_b32 s19, 0x20000                                     // 000000002DC4: BE9300FF 00020000
	s_mov_b32 s15, 0x20000                                     // 000000002DCC: BE8F00FF 00020000
	s_and_b32 s5, s5, 0xffff                                   // 000000002DD4: 8605FF05 0000FFFF
	s_and_b32 s9, s9, 0xffff                                   // 000000002DDC: 8609FF09 0000FFFF
	s_and_b32 s17, s17, 0xffff                                 // 000000002DE4: 8611FF11 0000FFFF
	s_and_b32 s13, s13, 0xffff                                 // 000000002DEC: 860DFF0D 0000FFFF
	s_or_b32 s5, s5, 0x40000                                   // 000000002DF4: 8705FF05 00040000
	s_or_b32 s9, s9, 0x40000                                   // 000000002DFC: 8709FF09 00040000
	s_or_b32 s17, s17, 0x40000                                 // 000000002E04: 8711FF11 00040000
	s_or_b32 s13, s13, 0x40000                                 // 000000002E0C: 870DFF0D 00040000
	s_cmp_gt_u32 s57, 0                                        // 000000002E14: BF088039
	s_cbranch_scc0 label_0090                                  // 000000002E18: BF840009
	s_lshr_b32 s58, s45, s57                                   // 000000002E1C: 8F3A392D
	s_add_u32 s58, s58, 0xff                                   // 000000002E20: 803AFF3A 000000FF
	s_lshr_b32 s58, s58, 8                                     // 000000002E28: 8F3A883A
	s_lshl_b32 s58, s58, 8                                     // 000000002E2C: 8E3A883A
	s_mul_i32 s53, s58, s56                                    // 000000002E30: 9235383A
	s_sub_i32 s52, s45, s53                                    // 000000002E34: 81B4352D
	s_cmp_lt_i32 s52, s58                                      // 000000002E38: BF043A34
	s_cselect_b32 s45, s52, s58                                // 000000002E3C: 852D3A34

0000000000002e40 <label_0090>:
	s_lshr_b32 s41, s41, 1                                     // 000000002E40: 8F298129
	s_mul_i32 s52, s41, s43                                    // 000000002E44: 92342B29
	s_mov_b32 s14, s52                                         // 000000002E48: BE8E0034
	s_cmp_gt_u32 s57, 0                                        // 000000002E4C: BF088039
	s_cbranch_scc0 label_009A                                  // 000000002E50: BF840005
	s_mul_i32 s53, s58, s56                                    // 000000002E54: 9235383A
	s_lshr_b32 s52, s53, 1                                     // 000000002E58: 8F348135
	s_add_u32 s12, s12, s52                                    // 000000002E5C: 800C340C
	s_addc_u32 s13, s13, 0                                     // 000000002E60: 820D800D
	s_sub_u32 s14, s14, s52                                    // 000000002E64: 808E340E

0000000000002e68 <label_009A>:
	s_lshr_b32 s42, s42, 1                                     // 000000002E68: 8F2A812A
	s_mul_i32 s52, s42, s44                                    // 000000002E6C: 92342C2A
	s_mov_b32 s18, s52                                         // 000000002E70: BE920034
	s_add_u32 s52, s43, 31                                     // 000000002E74: 80349F2B
	s_lshr_b32 s52, s52, 5                                     // 000000002E78: 8F348534
	s_lshl_b32 s52, s52, 5                                     // 000000002E7C: 8E348534
	s_mul_i32 s53, s52, s36                                    // 000000002E80: 92352434
	s_mov_b32 s22, s53                                         // 000000002E84: BE960035
	s_mul_i32 s53, s44, s37                                    // 000000002E88: 9235252C
	s_mov_b32 s26, s53                                         // 000000002E8C: BE9A0035
	s_mov_b32 s23, 0x20000                                     // 000000002E90: BE9700FF 00020000
	s_mov_b32 s27, 0x20000                                     // 000000002E98: BE9B00FF 00020000
	s_and_b32 s21, s21, 0xffff                                 // 000000002EA0: 8615FF15 0000FFFF
	s_and_b32 s25, s25, 0xffff                                 // 000000002EA8: 8619FF19 0000FFFF
	s_or_b32 s21, s21, 0x40000                                 // 000000002EB0: 8715FF15 00040000
	s_or_b32 s25, s25, 0x40000                                 // 000000002EB8: 8719FF19 00040000
	v_lshrrev_b32_e32 v4, 3, v0                                // 000000002EC0: 20080083
	v_lshrrev_b32_e32 v5, 2, v4                                // 000000002EC4: 200A0882
	v_lshlrev_b32_e32 v5, 4, v5                                // 000000002EC8: 240A0A84
	v_and_b32_e32 v4, 3, v4                                    // 000000002ECC: 26080883
	v_lshrrev_b32_e32 v6, 1, v4                                // 000000002ED0: 200C0881
	v_lshlrev_b32_e32 v6, 2, v6                                // 000000002ED4: 240C0C82
	v_add_u32_e32 v5, v5, v6                                   // 000000002ED8: 680A0D05
	v_and_b32_e32 v4, 1, v4                                    // 000000002EDC: 26080881
	v_add_u32_e32 v5, v5, v4                                   // 000000002EE0: 680A0905
	v_mul_lo_u32 v212, s41, v5                                 // 000000002EE4: D28500D4 00020A29
	v_and_b32_e32 v4, 7, v0                                    // 000000002EEC: 26080087
	v_lshlrev_b32_e32 v4, 4, v4                                // 000000002EF0: 24080884
	v_add_u32_e32 v212, v212, v4                               // 000000002EF4: 69A809D4
	s_lshr_b32 s52, s49, 1                                     // 000000002EF8: 8F348131
	s_mul_i32 s52, s52, 8                                      // 000000002EFC: 92348834
	s_and_b32 s53, s49, 1                                      // 000000002F00: 86358131
	s_mul_i32 s53, s53, 2                                      // 000000002F04: 92358235
	s_add_u32 s52, s52, s53                                    // 000000002F08: 80343534
	s_mul_i32 s53, s47, 0x100                                  // 000000002F0C: 9235FF2F 00000100
	s_add_u32 s52, s52, s53                                    // 000000002F14: 80343534
	s_mul_i32 s52, s41, s52                                    // 000000002F18: 92343429
	v_add_u32_e32 v212, s52, v212                              // 000000002F1C: 69A9A834
	s_mul_i32 s52, s41, 32                                     // 000000002F20: 9234A029
	v_add_u32_e32 v213, s52, v212                              // 000000002F24: 69ABA834
	v_add_u32_e32 v214, s52, v213                              // 000000002F28: 69ADAA34
	v_add_u32_e32 v215, s52, v214                              // 000000002F2C: 69AFAC34
	v_add_u32_e32 v216, s52, v215                              // 000000002F30: 69B1AE34
	v_add_u32_e32 v217, s52, v216                              // 000000002F34: 69B3B034
	v_add_u32_e32 v218, s52, v217                              // 000000002F38: 69B5B234
	v_add_u32_e32 v219, s52, v218                              // 000000002F3C: 69B7B434
	s_mul_i32 s59, 0x420, s49                                  // 000000002F40: 923B31FF 00000420
	s_add_u32 s59, 0x1000, s59                                 // 000000002F48: 803B3BFF 00001000
	v_and_b32_e32 v4, 15, v0                                   // 000000002F50: 2608008F
	v_lshrrev_b32_e32 v5, 3, v4                                // 000000002F54: 200A0883
	v_mul_i32_i24_e32 v5, 2, v5                                // 000000002F58: 0C0A0A82
	v_and_b32_e32 v4, 3, v0                                    // 000000002F5C: 26080083
	v_lshrrev_b32_e32 v6, 1, v4                                // 000000002F60: 200C0881
	v_add_u32_e32 v4, v5, v6                                   // 000000002F64: 68080D05
	v_mul_i32_i24_e32 v220, 0x420, v4                          // 000000002F68: 0DB808FF 00000420
	v_and_b32_e32 v4, 7, v0                                    // 000000002F70: 26080087
	v_lshrrev_b32_e32 v5, 2, v4                                // 000000002F74: 200A0882
	v_mul_i32_i24_e32 v5, 0x100, v5                            // 000000002F78: 0C0A0AFF 00000100
	v_add_u32_e32 v220, v5, v220                               // 000000002F80: 69B9B905
	v_and_b32_e32 v4, 1, v0                                    // 000000002F84: 26080081
	v_mul_i32_i24_e32 v6, 0x80, v4                             // 000000002F88: 0C0C08FF 00000080
	v_add_u32_e32 v220, v6, v220                               // 000000002F90: 69B9B906
	v_lshrrev_b32_e32 v4, 4, v0                                // 000000002F94: 20080084
	v_mul_i32_i24_e32 v4, 16, v4                               // 000000002F98: 0C080890
	v_add_u32_e32 v220, v4, v220                               // 000000002F9C: 69B9B904
	s_mov_b32 s52, 0x1000                                      // 000000002FA0: BEB400FF 00001000
	v_add_u32_e64 v220, v220, s52                              // 000000002FA8: D13400DC 000069DC
	v_add_u32_e32 v221, 0x8400, v220                           // 000000002FB0: 69BBB8FF 00008400
	s_cmp_gt_u32 s57, 0                                        // 000000002FB8: BF088039
	s_cbranch_scc0 label_00F4                                  // 000000002FBC: BF840004
	s_mul_i32 s53, s58, s56                                    // 000000002FC0: 9235383A
	s_add_u32 s20, s20, s53                                    // 000000002FC4: 80143514
	s_addc_u32 s21, s21, 0                                     // 000000002FC8: 82158015
	s_sub_u32 s22, s22, s53                                    // 000000002FCC: 80963516

0000000000002fd0 <label_00F4>:
	v_lshlrev_b32_e32 v222, 2, v0                              // 000000002FD0: 25BC0082
	s_mul_i32 s52, s47, 0x100                                  // 000000002FD4: 9234FF2F 00000100
	s_mul_i32 s53, s49, 32                                     // 000000002FDC: 9235A031
	s_add_i32 s52, s53, s52                                    // 000000002FE0: 81343435
	s_mul_i32 s53, s52, s36                                    // 000000002FE4: 92352434
	v_add_u32_e32 v222, s53, v222                              // 000000002FE8: 69BDBC35
	s_mul_i32 s53, 0x80, s36                                   // 000000002FEC: 923524FF 00000080
	v_add_u32_e32 v223, s53, v222                              // 000000002FF4: 69BFBC35
	s_mul_i32 s60, s49, 0x100                                  // 000000002FF8: 923CFF31 00000100
	s_add_i32 s60, s60, 0                                      // 000000003000: 813C803C
	v_lshlrev_b32_e32 v224, 2, v0                              // 000000003004: 25C00082
	v_add_u32_e32 v224, 0, v224                                // 000000003008: 69C1C080
	s_cmp_gt_u32 s57, 0                                        // 00000000300C: BF088039
	s_cbranch_scc0 label_010B                                  // 000000003010: BF840006
	s_mul_i32 s53, s58, s56                                    // 000000003014: 9235383A
	s_lshr_b32 s52, s53, 1                                     // 000000003018: 8F348135
	s_mul_i32 s52, s52, 16                                     // 00000000301C: 92349034
	s_add_u32 s16, s16, s52                                    // 000000003020: 80103410
	s_addc_u32 s17, s17, 0                                     // 000000003024: 82118011
	s_sub_u32 s18, s18, s52                                    // 000000003028: 80923412

000000000000302c <label_010B>:
	v_lshlrev_b32_e32 v225, 4, v0                              // 00000000302C: 25C20084
	s_mul_i32 s52, s46, 0x100                                  // 000000003030: 9234FF2E 00000100
	s_mul_i32 s53, s49, 64                                     // 000000003038: 9235C031
	s_add_u32 s52, s52, s53                                    // 00000000303C: 80343534
	s_mul_i32 s52, s52, s42                                    // 000000003040: 92342A34
	v_add_u32_e32 v225, s52, v225                              // 000000003044: 69C3C234
	s_mul_i32 s52, 16, s42                                     // 000000003048: 92342A90
	v_add_u32_e32 v226, s52, v225                              // 00000000304C: 69C5C234
	v_add_u32_e32 v227, s52, v226                              // 000000003050: 69C7C434
	v_add_u32_e32 v228, s52, v227                              // 000000003054: 69C9C634
	v_add_u32_e32 v229, 0x400, v225                            // 000000003058: 69CBC2FF 00000400
	v_add_u32_e32 v230, 0x400, v226                            // 000000003060: 69CDC4FF 00000400
	v_add_u32_e32 v231, 0x400, v227                            // 000000003068: 69CFC6FF 00000400
	v_add_u32_e32 v232, 0x400, v228                            // 000000003070: 69D1C8FF 00000400
	s_cmp_gt_u32 s57, 0                                        // 000000003078: BF088039
	s_cbranch_scc0 label_0124                                  // 00000000307C: BF840004
	s_mul_i32 s53, s58, s56                                    // 000000003080: 9235383A
	s_add_u32 s24, s24, s53                                    // 000000003084: 80183518
	s_addc_u32 s25, s25, 0                                     // 000000003088: 82198019
	s_sub_u32 s26, s26, s53                                    // 00000000308C: 809A351A

0000000000003090 <label_0124>:
	v_lshlrev_b32_e32 v233, 2, v0                              // 000000003090: 25D20082
	s_mul_i32 s52, s46, 0x100                                  // 000000003094: 9234FF2E 00000100
	s_mul_i32 s53, s49, 64                                     // 00000000309C: 9235C031
	s_add_i32 s52, s53, s52                                    // 0000000030A0: 81343435
	s_mul_i32 s53, s52, s37                                    // 0000000030A4: 92352534
	v_add_u32_e32 v233, s53, v233                              // 0000000030A8: 69D3D235
	s_mul_i32 s52, 32, s37                                     // 0000000030AC: 923425A0
	v_add_u32_e32 v234, s52, v233                              // 0000000030B0: 69D5D234
	s_mov_b32 s61, 0x80                                        // 0000000030B4: BEBD00FF 00000080
	s_mov_b32 s62, 0x800                                       // 0000000030BC: BEBE00FF 00000800
	s_mov_b32 s63, 0x100                                       // 0000000030C4: BEBF00FF 00000100
	s_mov_b32 s64, 0x100                                       // 0000000030CC: BEC000FF 00000100
	s_add_u32 m0, 0, s59                                       // 0000000030D4: 807C3B80
	buffer_load_dwordx4 v212, s[12:15], 0 offen lds            // 0000000030D8: E05D1000 800300D4
	v_accvgpr_write_b32 a0, 0                                  // 0000000030E0: D3D94000 18000080
	v_accvgpr_write_b32 a1, 0                                  // 0000000030E8: D3D94001 18000080
	v_accvgpr_write_b32 a2, 0                                  // 0000000030F0: D3D94002 18000080
	v_accvgpr_write_b32 a3, 0                                  // 0000000030F8: D3D94003 18000080
	v_accvgpr_write_b32 a4, 0                                  // 000000003100: D3D94004 18000080
	v_accvgpr_write_b32 a5, 0                                  // 000000003108: D3D94005 18000080
	v_accvgpr_write_b32 a6, 0                                  // 000000003110: D3D94006 18000080
	v_accvgpr_write_b32 a7, 0                                  // 000000003118: D3D94007 18000080
	s_add_u32 m0, 0x1080, s59                                  // 000000003120: 807C3BFF 00001080
	buffer_load_dwordx4 v213, s[12:15], 0 offen lds            // 000000003128: E05D1000 800300D5
	v_accvgpr_write_b32 a8, 0                                  // 000000003130: D3D94008 18000080
	v_accvgpr_write_b32 a9, 0                                  // 000000003138: D3D94009 18000080
	v_accvgpr_write_b32 a10, 0                                 // 000000003140: D3D9400A 18000080
	v_accvgpr_write_b32 a11, 0                                 // 000000003148: D3D9400B 18000080
	v_accvgpr_write_b32 a12, 0                                 // 000000003150: D3D9400C 18000080
	v_accvgpr_write_b32 a13, 0                                 // 000000003158: D3D9400D 18000080
	v_accvgpr_write_b32 a14, 0                                 // 000000003160: D3D9400E 18000080
	v_accvgpr_write_b32 a15, 0                                 // 000000003168: D3D9400F 18000080
	s_add_u32 m0, 0x2100, s59                                  // 000000003170: 807C3BFF 00002100
	buffer_load_dwordx4 v214, s[12:15], 0 offen lds            // 000000003178: E05D1000 800300D6
	v_accvgpr_write_b32 a16, 0                                 // 000000003180: D3D94010 18000080
	v_accvgpr_write_b32 a17, 0                                 // 000000003188: D3D94011 18000080
	v_accvgpr_write_b32 a18, 0                                 // 000000003190: D3D94012 18000080
	v_accvgpr_write_b32 a19, 0                                 // 000000003198: D3D94013 18000080
	v_accvgpr_write_b32 a20, 0                                 // 0000000031A0: D3D94014 18000080
	v_accvgpr_write_b32 a21, 0                                 // 0000000031A8: D3D94015 18000080
	v_accvgpr_write_b32 a22, 0                                 // 0000000031B0: D3D94016 18000080
	v_accvgpr_write_b32 a23, 0                                 // 0000000031B8: D3D94017 18000080
	s_add_u32 m0, 0x3180, s59                                  // 0000000031C0: 807C3BFF 00003180
	buffer_load_dwordx4 v215, s[12:15], 0 offen lds            // 0000000031C8: E05D1000 800300D7
	v_accvgpr_write_b32 a24, 0                                 // 0000000031D0: D3D94018 18000080
	v_accvgpr_write_b32 a25, 0                                 // 0000000031D8: D3D94019 18000080
	v_accvgpr_write_b32 a26, 0                                 // 0000000031E0: D3D9401A 18000080
	v_accvgpr_write_b32 a27, 0                                 // 0000000031E8: D3D9401B 18000080
	v_accvgpr_write_b32 a28, 0                                 // 0000000031F0: D3D9401C 18000080
	v_accvgpr_write_b32 a29, 0                                 // 0000000031F8: D3D9401D 18000080
	v_accvgpr_write_b32 a30, 0                                 // 000000003200: D3D9401E 18000080
	v_accvgpr_write_b32 a31, 0                                 // 000000003208: D3D9401F 18000080
	s_add_u32 m0, 0, s60                                       // 000000003210: 807C3C80
	buffer_load_dword v222, s[20:23], 0 offen lds              // 000000003214: E0511000 800500DE
	v_accvgpr_write_b32 a32, 0                                 // 00000000321C: D3D94020 18000080
	v_accvgpr_write_b32 a33, 0                                 // 000000003224: D3D94021 18000080
	v_accvgpr_write_b32 a34, 0                                 // 00000000322C: D3D94022 18000080
	v_accvgpr_write_b32 a35, 0                                 // 000000003234: D3D94023 18000080
	v_accvgpr_write_b32 a36, 0                                 // 00000000323C: D3D94024 18000080
	v_accvgpr_write_b32 a37, 0                                 // 000000003244: D3D94025 18000080
	v_accvgpr_write_b32 a38, 0                                 // 00000000324C: D3D94026 18000080
	v_accvgpr_write_b32 a39, 0                                 // 000000003254: D3D94027 18000080
	s_add_u32 m0, 0x4200, s59                                  // 00000000325C: 807C3BFF 00004200
	buffer_load_dwordx4 v216, s[12:15], 0 offen lds            // 000000003264: E05D1000 800300D8
	v_accvgpr_write_b32 a40, 0                                 // 00000000326C: D3D94028 18000080
	v_accvgpr_write_b32 a41, 0                                 // 000000003274: D3D94029 18000080
	v_accvgpr_write_b32 a42, 0                                 // 00000000327C: D3D9402A 18000080
	v_accvgpr_write_b32 a43, 0                                 // 000000003284: D3D9402B 18000080
	v_accvgpr_write_b32 a44, 0                                 // 00000000328C: D3D9402C 18000080
	v_accvgpr_write_b32 a45, 0                                 // 000000003294: D3D9402D 18000080
	v_accvgpr_write_b32 a46, 0                                 // 00000000329C: D3D9402E 18000080
	v_accvgpr_write_b32 a47, 0                                 // 0000000032A4: D3D9402F 18000080
	s_add_u32 m0, 0x5280, s59                                  // 0000000032AC: 807C3BFF 00005280
	buffer_load_dwordx4 v217, s[12:15], 0 offen lds            // 0000000032B4: E05D1000 800300D9
	v_accvgpr_write_b32 a48, 0                                 // 0000000032BC: D3D94030 18000080
	v_accvgpr_write_b32 a49, 0                                 // 0000000032C4: D3D94031 18000080
	v_accvgpr_write_b32 a50, 0                                 // 0000000032CC: D3D94032 18000080
	v_accvgpr_write_b32 a51, 0                                 // 0000000032D4: D3D94033 18000080
	v_accvgpr_write_b32 a52, 0                                 // 0000000032DC: D3D94034 18000080
	v_accvgpr_write_b32 a53, 0                                 // 0000000032E4: D3D94035 18000080
	v_accvgpr_write_b32 a54, 0                                 // 0000000032EC: D3D94036 18000080
	v_accvgpr_write_b32 a55, 0                                 // 0000000032F4: D3D94037 18000080
	s_add_u32 m0, 0x6300, s59                                  // 0000000032FC: 807C3BFF 00006300
	buffer_load_dwordx4 v218, s[12:15], 0 offen lds            // 000000003304: E05D1000 800300DA
	v_accvgpr_write_b32 a56, 0                                 // 00000000330C: D3D94038 18000080
	v_accvgpr_write_b32 a57, 0                                 // 000000003314: D3D94039 18000080
	v_accvgpr_write_b32 a58, 0                                 // 00000000331C: D3D9403A 18000080
	v_accvgpr_write_b32 a59, 0                                 // 000000003324: D3D9403B 18000080
	v_accvgpr_write_b32 a60, 0                                 // 00000000332C: D3D9403C 18000080
	v_accvgpr_write_b32 a61, 0                                 // 000000003334: D3D9403D 18000080
	v_accvgpr_write_b32 a62, 0                                 // 00000000333C: D3D9403E 18000080
	v_accvgpr_write_b32 a63, 0                                 // 000000003344: D3D9403F 18000080
	s_add_u32 m0, 0x7380, s59                                  // 00000000334C: 807C3BFF 00007380
	buffer_load_dwordx4 v219, s[12:15], 0 offen lds            // 000000003354: E05D1000 800300DB
	v_accvgpr_write_b32 a64, 0                                 // 00000000335C: D3D94040 18000080
	v_accvgpr_write_b32 a65, 0                                 // 000000003364: D3D94041 18000080
	v_accvgpr_write_b32 a66, 0                                 // 00000000336C: D3D94042 18000080
	v_accvgpr_write_b32 a67, 0                                 // 000000003374: D3D94043 18000080
	v_accvgpr_write_b32 a68, 0                                 // 00000000337C: D3D94044 18000080
	v_accvgpr_write_b32 a69, 0                                 // 000000003384: D3D94045 18000080
	v_accvgpr_write_b32 a70, 0                                 // 00000000338C: D3D94046 18000080
	v_accvgpr_write_b32 a71, 0                                 // 000000003394: D3D94047 18000080
	s_add_u32 m0, 0x400, s60                                   // 00000000339C: 807C3CFF 00000400
	buffer_load_dword v223, s[20:23], 0 offen lds              // 0000000033A4: E0511000 800500DF
	v_accvgpr_write_b32 a72, 0                                 // 0000000033AC: D3D94048 18000080
	v_accvgpr_write_b32 a73, 0                                 // 0000000033B4: D3D94049 18000080
	v_accvgpr_write_b32 a74, 0                                 // 0000000033BC: D3D9404A 18000080
	v_accvgpr_write_b32 a75, 0                                 // 0000000033C4: D3D9404B 18000080
	v_accvgpr_write_b32 a76, 0                                 // 0000000033CC: D3D9404C 18000080
	v_accvgpr_write_b32 a77, 0                                 // 0000000033D4: D3D9404D 18000080
	v_accvgpr_write_b32 a78, 0                                 // 0000000033DC: D3D9404E 18000080
	v_accvgpr_write_b32 a79, 0                                 // 0000000033E4: D3D9404F 18000080
	s_add_u32 s12, s61, s12                                    // 0000000033EC: 800C0C3D
	s_addc_u32 s13, 0, s13                                     // 0000000033F0: 820D0D80
	s_sub_u32 s14, s14, s61                                    // 0000000033F4: 808E3D0E
	s_add_u32 s20, s63, s20                                    // 0000000033F8: 8014143F
	s_addc_u32 s21, 0, s21                                     // 0000000033FC: 82151580
	s_sub_u32 s22, s22, s63                                    // 000000003400: 80963F16
	v_accvgpr_write_b32 a80, 0                                 // 000000003404: D3D94050 18000080
	v_accvgpr_write_b32 a81, 0                                 // 00000000340C: D3D94051 18000080
	v_accvgpr_write_b32 a82, 0                                 // 000000003414: D3D94052 18000080
	v_accvgpr_write_b32 a83, 0                                 // 00000000341C: D3D94053 18000080
	v_accvgpr_write_b32 a84, 0                                 // 000000003424: D3D94054 18000080
	v_accvgpr_write_b32 a85, 0                                 // 00000000342C: D3D94055 18000080
	v_accvgpr_write_b32 a86, 0                                 // 000000003434: D3D94056 18000080
	v_accvgpr_write_b32 a87, 0                                 // 00000000343C: D3D94057 18000080
	buffer_load_dwordx4 v[136:139], v225, s[16:19], 0 offen    // 000000003444: E05C1000 800488E1
	v_accvgpr_write_b32 a88, 0                                 // 00000000344C: D3D94058 18000080
	v_accvgpr_write_b32 a89, 0                                 // 000000003454: D3D94059 18000080
	v_accvgpr_write_b32 a90, 0                                 // 00000000345C: D3D9405A 18000080
	v_accvgpr_write_b32 a91, 0                                 // 000000003464: D3D9405B 18000080
	v_accvgpr_write_b32 a92, 0                                 // 00000000346C: D3D9405C 18000080
	v_accvgpr_write_b32 a93, 0                                 // 000000003474: D3D9405D 18000080
	v_accvgpr_write_b32 a94, 0                                 // 00000000347C: D3D9405E 18000080
	v_accvgpr_write_b32 a95, 0                                 // 000000003484: D3D9405F 18000080
	buffer_load_dwordx4 v[140:143], v226, s[16:19], 0 offen    // 00000000348C: E05C1000 80048CE2
	v_accvgpr_write_b32 a96, 0                                 // 000000003494: D3D94060 18000080
	v_accvgpr_write_b32 a97, 0                                 // 00000000349C: D3D94061 18000080
	v_accvgpr_write_b32 a98, 0                                 // 0000000034A4: D3D94062 18000080
	v_accvgpr_write_b32 a99, 0                                 // 0000000034AC: D3D94063 18000080
	v_accvgpr_write_b32 a100, 0                                // 0000000034B4: D3D94064 18000080
	v_accvgpr_write_b32 a101, 0                                // 0000000034BC: D3D94065 18000080
	v_accvgpr_write_b32 a102, 0                                // 0000000034C4: D3D94066 18000080
	v_accvgpr_write_b32 a103, 0                                // 0000000034CC: D3D94067 18000080
	buffer_load_dwordx4 v[144:147], v227, s[16:19], 0 offen    // 0000000034D4: E05C1000 800490E3
	v_accvgpr_write_b32 a104, 0                                // 0000000034DC: D3D94068 18000080
	v_accvgpr_write_b32 a105, 0                                // 0000000034E4: D3D94069 18000080
	v_accvgpr_write_b32 a106, 0                                // 0000000034EC: D3D9406A 18000080
	v_accvgpr_write_b32 a107, 0                                // 0000000034F4: D3D9406B 18000080
	v_accvgpr_write_b32 a108, 0                                // 0000000034FC: D3D9406C 18000080
	v_accvgpr_write_b32 a109, 0                                // 000000003504: D3D9406D 18000080
	v_accvgpr_write_b32 a110, 0                                // 00000000350C: D3D9406E 18000080
	v_accvgpr_write_b32 a111, 0                                // 000000003514: D3D9406F 18000080
	buffer_load_dwordx4 v[148:151], v228, s[16:19], 0 offen    // 00000000351C: E05C1000 800494E4
	v_accvgpr_write_b32 a112, 0                                // 000000003524: D3D94070 18000080
	v_accvgpr_write_b32 a113, 0                                // 00000000352C: D3D94071 18000080
	v_accvgpr_write_b32 a114, 0                                // 000000003534: D3D94072 18000080
	v_accvgpr_write_b32 a115, 0                                // 00000000353C: D3D94073 18000080
	v_accvgpr_write_b32 a116, 0                                // 000000003544: D3D94074 18000080
	v_accvgpr_write_b32 a117, 0                                // 00000000354C: D3D94075 18000080
	v_accvgpr_write_b32 a118, 0                                // 000000003554: D3D94076 18000080
	v_accvgpr_write_b32 a119, 0                                // 00000000355C: D3D94077 18000080
	buffer_load_dwordx4 v[152:155], v229, s[16:19], 0 offen    // 000000003564: E05C1000 800498E5
	v_accvgpr_write_b32 a120, 0                                // 00000000356C: D3D94078 18000080
	v_accvgpr_write_b32 a121, 0                                // 000000003574: D3D94079 18000080
	v_accvgpr_write_b32 a122, 0                                // 00000000357C: D3D9407A 18000080
	v_accvgpr_write_b32 a123, 0                                // 000000003584: D3D9407B 18000080
	v_accvgpr_write_b32 a124, 0                                // 00000000358C: D3D9407C 18000080
	v_accvgpr_write_b32 a125, 0                                // 000000003594: D3D9407D 18000080
	v_accvgpr_write_b32 a126, 0                                // 00000000359C: D3D9407E 18000080
	v_accvgpr_write_b32 a127, 0                                // 0000000035A4: D3D9407F 18000080
	buffer_load_dwordx4 v[156:159], v230, s[16:19], 0 offen    // 0000000035AC: E05C1000 80049CE6
	v_accvgpr_write_b32 a128, 0                                // 0000000035B4: D3D94080 18000080
	v_accvgpr_write_b32 a129, 0                                // 0000000035BC: D3D94081 18000080
	v_accvgpr_write_b32 a130, 0                                // 0000000035C4: D3D94082 18000080
	v_accvgpr_write_b32 a131, 0                                // 0000000035CC: D3D94083 18000080
	v_accvgpr_write_b32 a132, 0                                // 0000000035D4: D3D94084 18000080
	v_accvgpr_write_b32 a133, 0                                // 0000000035DC: D3D94085 18000080
	v_accvgpr_write_b32 a134, 0                                // 0000000035E4: D3D94086 18000080
	v_accvgpr_write_b32 a135, 0                                // 0000000035EC: D3D94087 18000080
	buffer_load_dwordx4 v[160:163], v231, s[16:19], 0 offen    // 0000000035F4: E05C1000 8004A0E7
	v_accvgpr_write_b32 a136, 0                                // 0000000035FC: D3D94088 18000080
	v_accvgpr_write_b32 a137, 0                                // 000000003604: D3D94089 18000080
	v_accvgpr_write_b32 a138, 0                                // 00000000360C: D3D9408A 18000080
	v_accvgpr_write_b32 a139, 0                                // 000000003614: D3D9408B 18000080
	v_accvgpr_write_b32 a140, 0                                // 00000000361C: D3D9408C 18000080
	v_accvgpr_write_b32 a141, 0                                // 000000003624: D3D9408D 18000080
	v_accvgpr_write_b32 a142, 0                                // 00000000362C: D3D9408E 18000080
	v_accvgpr_write_b32 a143, 0                                // 000000003634: D3D9408F 18000080
	buffer_load_dwordx4 v[164:167], v232, s[16:19], 0 offen    // 00000000363C: E05C1000 8004A4E8
	v_accvgpr_write_b32 a144, 0                                // 000000003644: D3D94090 18000080
	v_accvgpr_write_b32 a145, 0                                // 00000000364C: D3D94091 18000080
	v_accvgpr_write_b32 a146, 0                                // 000000003654: D3D94092 18000080
	v_accvgpr_write_b32 a147, 0                                // 00000000365C: D3D94093 18000080
	v_accvgpr_write_b32 a148, 0                                // 000000003664: D3D94094 18000080
	v_accvgpr_write_b32 a149, 0                                // 00000000366C: D3D94095 18000080
	v_accvgpr_write_b32 a150, 0                                // 000000003674: D3D94096 18000080
	v_accvgpr_write_b32 a151, 0                                // 00000000367C: D3D94097 18000080
	s_add_u32 s16, s62, s16                                    // 000000003684: 8010103E
	s_addc_u32 s17, 0, s17                                     // 000000003688: 82111180
	s_sub_u32 s18, s18, s62                                    // 00000000368C: 80923E12
	buffer_load_dword v208, v233, s[24:27], 0 offen            // 000000003690: E0501000 8006D0E9
	v_accvgpr_write_b32 a152, 0                                // 000000003698: D3D94098 18000080
	v_accvgpr_write_b32 a153, 0                                // 0000000036A0: D3D94099 18000080
	v_accvgpr_write_b32 a154, 0                                // 0000000036A8: D3D9409A 18000080
	v_accvgpr_write_b32 a155, 0                                // 0000000036B0: D3D9409B 18000080
	v_accvgpr_write_b32 a156, 0                                // 0000000036B8: D3D9409C 18000080
	v_accvgpr_write_b32 a157, 0                                // 0000000036C0: D3D9409D 18000080
	v_accvgpr_write_b32 a158, 0                                // 0000000036C8: D3D9409E 18000080
	v_accvgpr_write_b32 a159, 0                                // 0000000036D0: D3D9409F 18000080
	buffer_load_dword v209, v234, s[24:27], 0 offen            // 0000000036D8: E0501000 8006D1EA
	v_accvgpr_write_b32 a160, 0                                // 0000000036E0: D3D940A0 18000080
	v_accvgpr_write_b32 a161, 0                                // 0000000036E8: D3D940A1 18000080
	v_accvgpr_write_b32 a162, 0                                // 0000000036F0: D3D940A2 18000080
	v_accvgpr_write_b32 a163, 0                                // 0000000036F8: D3D940A3 18000080
	v_accvgpr_write_b32 a164, 0                                // 000000003700: D3D940A4 18000080
	v_accvgpr_write_b32 a165, 0                                // 000000003708: D3D940A5 18000080
	v_accvgpr_write_b32 a166, 0                                // 000000003710: D3D940A6 18000080
	v_accvgpr_write_b32 a167, 0                                // 000000003718: D3D940A7 18000080
	s_add_u32 s24, s64, s24                                    // 000000003720: 80181840
	s_addc_u32 s25, 0, s25                                     // 000000003724: 82191980
	s_sub_u32 s26, s26, s64                                    // 000000003728: 809A401A
	s_add_u32 m0, 0x8400, s59                                  // 00000000372C: 807C3BFF 00008400
	buffer_load_dwordx4 v212, s[12:15], 0 offen lds            // 000000003734: E05D1000 800300D4
	v_accvgpr_write_b32 a168, 0                                // 00000000373C: D3D940A8 18000080
	v_accvgpr_write_b32 a169, 0                                // 000000003744: D3D940A9 18000080
	v_accvgpr_write_b32 a170, 0                                // 00000000374C: D3D940AA 18000080
	v_accvgpr_write_b32 a171, 0                                // 000000003754: D3D940AB 18000080
	v_accvgpr_write_b32 a172, 0                                // 00000000375C: D3D940AC 18000080
	v_accvgpr_write_b32 a173, 0                                // 000000003764: D3D940AD 18000080
	v_accvgpr_write_b32 a174, 0                                // 00000000376C: D3D940AE 18000080
	v_accvgpr_write_b32 a175, 0                                // 000000003774: D3D940AF 18000080
	s_add_u32 m0, 0x9480, s59                                  // 00000000377C: 807C3BFF 00009480
	buffer_load_dwordx4 v213, s[12:15], 0 offen lds            // 000000003784: E05D1000 800300D5
	v_accvgpr_write_b32 a176, 0                                // 00000000378C: D3D940B0 18000080
	v_accvgpr_write_b32 a177, 0                                // 000000003794: D3D940B1 18000080
	v_accvgpr_write_b32 a178, 0                                // 00000000379C: D3D940B2 18000080
	v_accvgpr_write_b32 a179, 0                                // 0000000037A4: D3D940B3 18000080
	v_accvgpr_write_b32 a180, 0                                // 0000000037AC: D3D940B4 18000080
	v_accvgpr_write_b32 a181, 0                                // 0000000037B4: D3D940B5 18000080
	v_accvgpr_write_b32 a182, 0                                // 0000000037BC: D3D940B6 18000080
	v_accvgpr_write_b32 a183, 0                                // 0000000037C4: D3D940B7 18000080
	s_add_u32 m0, 0xa500, s59                                  // 0000000037CC: 807C3BFF 0000A500
	buffer_load_dwordx4 v214, s[12:15], 0 offen lds            // 0000000037D4: E05D1000 800300D6
	v_accvgpr_write_b32 a184, 0                                // 0000000037DC: D3D940B8 18000080
	v_accvgpr_write_b32 a185, 0                                // 0000000037E4: D3D940B9 18000080
	v_accvgpr_write_b32 a186, 0                                // 0000000037EC: D3D940BA 18000080
	v_accvgpr_write_b32 a187, 0                                // 0000000037F4: D3D940BB 18000080
	v_accvgpr_write_b32 a188, 0                                // 0000000037FC: D3D940BC 18000080
	v_accvgpr_write_b32 a189, 0                                // 000000003804: D3D940BD 18000080
	v_accvgpr_write_b32 a190, 0                                // 00000000380C: D3D940BE 18000080
	v_accvgpr_write_b32 a191, 0                                // 000000003814: D3D940BF 18000080
	s_add_u32 m0, 0xb580, s59                                  // 00000000381C: 807C3BFF 0000B580
	buffer_load_dwordx4 v215, s[12:15], 0 offen lds            // 000000003824: E05D1000 800300D7
	v_accvgpr_write_b32 a192, 0                                // 00000000382C: D3D940C0 18000080
	v_accvgpr_write_b32 a193, 0                                // 000000003834: D3D940C1 18000080
	v_accvgpr_write_b32 a194, 0                                // 00000000383C: D3D940C2 18000080
	v_accvgpr_write_b32 a195, 0                                // 000000003844: D3D940C3 18000080
	v_accvgpr_write_b32 a196, 0                                // 00000000384C: D3D940C4 18000080
	v_accvgpr_write_b32 a197, 0                                // 000000003854: D3D940C5 18000080
	v_accvgpr_write_b32 a198, 0                                // 00000000385C: D3D940C6 18000080
	v_accvgpr_write_b32 a199, 0                                // 000000003864: D3D940C7 18000080
	s_add_u32 m0, 0x800, s60                                   // 00000000386C: 807C3CFF 00000800
	buffer_load_dword v222, s[20:23], 0 offen lds              // 000000003874: E0511000 800500DE
	v_accvgpr_write_b32 a200, 0                                // 00000000387C: D3D940C8 18000080
	v_accvgpr_write_b32 a201, 0                                // 000000003884: D3D940C9 18000080
	v_accvgpr_write_b32 a202, 0                                // 00000000388C: D3D940CA 18000080
	v_accvgpr_write_b32 a203, 0                                // 000000003894: D3D940CB 18000080
	v_accvgpr_write_b32 a204, 0                                // 00000000389C: D3D940CC 18000080
	v_accvgpr_write_b32 a205, 0                                // 0000000038A4: D3D940CD 18000080
	v_accvgpr_write_b32 a206, 0                                // 0000000038AC: D3D940CE 18000080
	v_accvgpr_write_b32 a207, 0                                // 0000000038B4: D3D940CF 18000080
	s_add_u32 m0, 0xc600, s59                                  // 0000000038BC: 807C3BFF 0000C600
	buffer_load_dwordx4 v216, s[12:15], 0 offen lds            // 0000000038C4: E05D1000 800300D8
	v_accvgpr_write_b32 a208, 0                                // 0000000038CC: D3D940D0 18000080
	v_accvgpr_write_b32 a209, 0                                // 0000000038D4: D3D940D1 18000080
	v_accvgpr_write_b32 a210, 0                                // 0000000038DC: D3D940D2 18000080
	v_accvgpr_write_b32 a211, 0                                // 0000000038E4: D3D940D3 18000080
	v_accvgpr_write_b32 a212, 0                                // 0000000038EC: D3D940D4 18000080
	v_accvgpr_write_b32 a213, 0                                // 0000000038F4: D3D940D5 18000080
	v_accvgpr_write_b32 a214, 0                                // 0000000038FC: D3D940D6 18000080
	v_accvgpr_write_b32 a215, 0                                // 000000003904: D3D940D7 18000080
	s_add_u32 m0, 0xd680, s59                                  // 00000000390C: 807C3BFF 0000D680
	buffer_load_dwordx4 v217, s[12:15], 0 offen lds            // 000000003914: E05D1000 800300D9
	v_accvgpr_write_b32 a216, 0                                // 00000000391C: D3D940D8 18000080
	v_accvgpr_write_b32 a217, 0                                // 000000003924: D3D940D9 18000080
	v_accvgpr_write_b32 a218, 0                                // 00000000392C: D3D940DA 18000080
	v_accvgpr_write_b32 a219, 0                                // 000000003934: D3D940DB 18000080
	v_accvgpr_write_b32 a220, 0                                // 00000000393C: D3D940DC 18000080
	v_accvgpr_write_b32 a221, 0                                // 000000003944: D3D940DD 18000080
	v_accvgpr_write_b32 a222, 0                                // 00000000394C: D3D940DE 18000080
	v_accvgpr_write_b32 a223, 0                                // 000000003954: D3D940DF 18000080
	s_add_u32 m0, 0xe700, s59                                  // 00000000395C: 807C3BFF 0000E700
	buffer_load_dwordx4 v218, s[12:15], 0 offen lds            // 000000003964: E05D1000 800300DA
	v_accvgpr_write_b32 a224, 0                                // 00000000396C: D3D940E0 18000080
	v_accvgpr_write_b32 a225, 0                                // 000000003974: D3D940E1 18000080
	v_accvgpr_write_b32 a226, 0                                // 00000000397C: D3D940E2 18000080
	v_accvgpr_write_b32 a227, 0                                // 000000003984: D3D940E3 18000080
	v_accvgpr_write_b32 a228, 0                                // 00000000398C: D3D940E4 18000080
	v_accvgpr_write_b32 a229, 0                                // 000000003994: D3D940E5 18000080
	v_accvgpr_write_b32 a230, 0                                // 00000000399C: D3D940E6 18000080
	v_accvgpr_write_b32 a231, 0                                // 0000000039A4: D3D940E7 18000080
	s_add_u32 m0, 0xf780, s59                                  // 0000000039AC: 807C3BFF 0000F780
	buffer_load_dwordx4 v219, s[12:15], 0 offen lds            // 0000000039B4: E05D1000 800300DB
	v_accvgpr_write_b32 a232, 0                                // 0000000039BC: D3D940E8 18000080
	v_accvgpr_write_b32 a233, 0                                // 0000000039C4: D3D940E9 18000080
	v_accvgpr_write_b32 a234, 0                                // 0000000039CC: D3D940EA 18000080
	v_accvgpr_write_b32 a235, 0                                // 0000000039D4: D3D940EB 18000080
	v_accvgpr_write_b32 a236, 0                                // 0000000039DC: D3D940EC 18000080
	v_accvgpr_write_b32 a237, 0                                // 0000000039E4: D3D940ED 18000080
	v_accvgpr_write_b32 a238, 0                                // 0000000039EC: D3D940EE 18000080
	v_accvgpr_write_b32 a239, 0                                // 0000000039F4: D3D940EF 18000080
	s_add_u32 m0, 0xc00, s60                                   // 0000000039FC: 807C3CFF 00000C00
	buffer_load_dword v223, s[20:23], 0 offen lds              // 000000003A04: E0511000 800500DF
	v_accvgpr_write_b32 a240, 0                                // 000000003A0C: D3D940F0 18000080
	v_accvgpr_write_b32 a241, 0                                // 000000003A14: D3D940F1 18000080
	v_accvgpr_write_b32 a242, 0                                // 000000003A1C: D3D940F2 18000080
	v_accvgpr_write_b32 a243, 0                                // 000000003A24: D3D940F3 18000080
	v_accvgpr_write_b32 a244, 0                                // 000000003A2C: D3D940F4 18000080
	v_accvgpr_write_b32 a245, 0                                // 000000003A34: D3D940F5 18000080
	v_accvgpr_write_b32 a246, 0                                // 000000003A3C: D3D940F6 18000080
	v_accvgpr_write_b32 a247, 0                                // 000000003A44: D3D940F7 18000080
	s_add_u32 s12, s61, s12                                    // 000000003A4C: 800C0C3D
	s_addc_u32 s13, 0, s13                                     // 000000003A50: 820D0D80
	s_sub_u32 s14, s14, s61                                    // 000000003A54: 808E3D0E
	s_add_u32 s20, s63, s20                                    // 000000003A58: 8014143F
	s_addc_u32 s21, 0, s21                                     // 000000003A5C: 82151580
	s_sub_u32 s22, s22, s63                                    // 000000003A60: 80963F16
	v_accvgpr_write_b32 a248, 0                                // 000000003A64: D3D940F8 18000080
	v_accvgpr_write_b32 a249, 0                                // 000000003A6C: D3D940F9 18000080
	v_accvgpr_write_b32 a250, 0                                // 000000003A74: D3D940FA 18000080
	v_accvgpr_write_b32 a251, 0                                // 000000003A7C: D3D940FB 18000080
	v_accvgpr_write_b32 a252, 0                                // 000000003A84: D3D940FC 18000080
	v_accvgpr_write_b32 a253, 0                                // 000000003A8C: D3D940FD 18000080
	v_accvgpr_write_b32 a254, 0                                // 000000003A94: D3D940FE 18000080
	v_accvgpr_write_b32 a255, 0                                // 000000003A9C: D3D940FF 18000080
	s_waitcnt vmcnt(25)                                        // 000000003AA4: BF8C4F79
	s_barrier                                                  // 000000003AA8: BF8A0000
	ds_read_b128 v[8:11], v220                                 // 000000003AAC: D9FE0000 080000DC
	ds_read_b128 v[40:43], v220 offset:64                      // 000000003AB4: D9FE0040 280000DC
	ds_read_b128 v[12:15], v220 offset:512                     // 000000003ABC: D9FE0200 0C0000DC
	ds_read_b128 v[44:47], v220 offset:576                     // 000000003AC4: D9FE0240 2C0000DC
	ds_read_b128 v[16:19], v220 offset:4224                    // 000000003ACC: D9FE1080 100000DC
	ds_read_b128 v[48:51], v220 offset:4288                    // 000000003AD4: D9FE10C0 300000DC
	ds_read_b128 v[20:23], v220 offset:4736                    // 000000003ADC: D9FE1280 140000DC
	ds_read_b128 v[52:55], v220 offset:4800                    // 000000003AE4: D9FE12C0 340000DC
	ds_read_b128 v[24:27], v220 offset:8448                    // 000000003AEC: D9FE2100 180000DC
	ds_read_b128 v[56:59], v220 offset:8512                    // 000000003AF4: D9FE2140 380000DC
	ds_read_b128 v[28:31], v220 offset:8960                    // 000000003AFC: D9FE2300 1C0000DC
	ds_read_b128 v[60:63], v220 offset:9024                    // 000000003B04: D9FE2340 3C0000DC
	ds_read_b128 v[32:35], v220 offset:12672                   // 000000003B0C: D9FE3180 200000DC
	ds_read_b128 v[64:67], v220 offset:12736                   // 000000003B14: D9FE31C0 400000DC
	ds_read_b128 v[36:39], v220 offset:13184                   // 000000003B1C: D9FE3380 240000DC
	ds_read_b128 v[68:71], v220 offset:13248                   // 000000003B24: D9FE33C0 440000DC
	ds_read_b32 v200, v224                                     // 000000003B2C: D86C0000 C80000E0
	ds_read_b32 v201, v224 offset:256                          // 000000003B34: D86C0100 C90000E0
	ds_read_b32 v202, v224 offset:512                          // 000000003B3C: D86C0200 CA0000E0
	ds_read_b32 v203, v224 offset:768                          // 000000003B44: D86C0300 CB0000E0
	s_lshl_b32 s40, s40, 1                                     // 000000003B4C: 8E288128
	s_mul_i32 s52, s47, 0x100                                  // 000000003B50: 9234FF2F 00000100
	s_mul_hi_u32 s53, s52, s40                                 // 000000003B58: 96352834
	s_add_u32 s5, s5, s53                                      // 000000003B5C: 80053505
	s_mul_i32 s53, s52, s40                                    // 000000003B60: 92352834
	s_add_u32 s4, s4, s53                                      // 000000003B64: 80043504
	s_addc_u32 s5, 0, s5                                       // 000000003B68: 82050580
	s_sub_i32 s52, s43, s52                                    // 000000003B6C: 81B4342B
	s_mul_i32 s52, s52, s40                                    // 000000003B70: 92342834
	s_mov_b32 s6, s52                                          // 000000003B74: BE860034
	v_and_b32_e64 v235, v0, 15                                 // 000000003B78: D11300EB 00011F00
	v_mul_lo_u32 v235, v235, s40                               // 000000003B80: D28500EB 000051EB
	v_lshrrev_b32_e32 v4, 5, v0                                // 000000003B88: 20080085
	v_mul_i32_i24_e32 v4, 16, v4                               // 000000003B8C: 0C080890
	v_add_u32_e32 v235, v4, v235                               // 000000003B90: 69D7D704
	v_lshrrev_b32_e32 v4, 4, v0                                // 000000003B94: 20080084
	v_and_b32_e32 v4, 1, v4                                    // 000000003B98: 26080881
	v_mul_i32_i24_e32 v4, 32, v4                               // 000000003B9C: 0C0808A0
	v_add_u32_e32 v235, v4, v235                               // 000000003BA0: 69D7D704
	s_mul_i32 s52, s46, 0x100                                  // 000000003BA4: 9234FF2E 00000100
	s_mul_i32 s53, s49, 64                                     // 000000003BAC: 9235C031
	s_add_i32 s52, s52, s53                                    // 000000003BB0: 81343534
	s_lshl_b32 s52, s52, 1                                     // 000000003BB4: 8E348134
	v_add_u32_e32 v235, s52, v235                              // 000000003BB8: 69D7D634
	s_mul_i32 s53, s40, 16                                     // 000000003BBC: 92359028
	v_add_u32_e64 v236, v235, s53                              // 000000003BC0: D13400EC 00006BEB
	v_add_u32_e64 v237, v236, s53                              // 000000003BC8: D13400ED 00006BEC
	v_add_u32_e64 v238, v237, s53                              // 000000003BD0: D13400EE 00006BED
	v_add_u32_e64 v239, v238, s53                              // 000000003BD8: D13400EF 00006BEE
	v_add_u32_e64 v240, v239, s53                              // 000000003BE0: D13400F0 00006BEF
	v_add_u32_e64 v241, v240, s53                              // 000000003BE8: D13400F1 00006BF0
	v_add_u32_e64 v242, v241, s53                              // 000000003BF0: D13400F2 00006BF1
	v_add_u32_e64 v243, v242, s53                              // 000000003BF8: D13400F3 00006BF2
	v_add_u32_e64 v244, v243, s53                              // 000000003C00: D13400F4 00006BF3
	v_add_u32_e64 v245, v244, s53                              // 000000003C08: D13400F5 00006BF4
	v_add_u32_e64 v246, v245, s53                              // 000000003C10: D13400F6 00006BF5
	v_add_u32_e64 v247, v246, s53                              // 000000003C18: D13400F7 00006BF6
	v_add_u32_e64 v248, v247, s53                              // 000000003C20: D13400F8 00006BF7
	v_add_u32_e64 v249, v248, s53                              // 000000003C28: D13400F9 00006BF8
	v_add_u32_e64 v250, v249, s53                              // 000000003C30: D13400FA 00006BF9
	s_mov_b32 s50, 0                                           // 000000003C38: BEB20080
	s_mov_b32 s51, s45                                         // 000000003C3C: BEB3002D
	s_cmp_lt_u32 0x200, s51                                    // 000000003C40: BF0A33FF 00000200
	s_cselect_b32 s61, s61, 0                                  // 000000003C48: 853D803D
	s_cselect_b32 s63, s63, 0                                  // 000000003C4C: 853F803F
	s_cmp_lt_u32 0x100, s51                                    // 000000003C50: BF0A33FF 00000100
	s_cselect_b32 s62, s62, 0                                  // 000000003C58: 853E803E
	s_cselect_b32 s64, s64, 0                                  // 000000003C5C: 85408040
	s_cmp_lt_i32 s49, 2                                        // 000000003C60: BF048231
	s_cbranch_scc0 label_0971                                  // 000000003C64: BF840557

0000000000003c68 <label_041A>:
	s_waitcnt vmcnt(10) lgkmcnt(0)                             // 000000003C68: BF8C007A
	v_mfma_scale_f32_16x16x128_f8f6f4 a[0:3], v[136:139], v[8:11], a[0:3], v208, v200 op_sel_hi:[0,0,0] cbsz:4 blgp:4// 000000003C6C: D3AC6000 000391D0 D3AD8C00 84021188
	s_barrier                                                  // 000000003C7C: BF8A0000
	s_nop 0                                                    // 000000003C80: BF800000
	s_nop 0                                                    // 000000003C84: BF800000
	v_mfma_scale_f32_16x16x128_f8f6f4 a[4:7], v[136:139], v[12:15], a[4:7], v208, v200 op_sel_hi:[0,0,0] cbsz:4 blgp:4// 000000003C88: D3AC7000 000391D0 D3AD8C04 84121988
	buffer_load_dwordx4 v[168:171], v225, s[16:19], 0 offen    // 000000003C98: E05C1000 8004A8E1
	v_mfma_scale_f32_16x16x128_f8f6f4 a[32:35], v[140:143], v[8:11], a[32:35], v208, v200 op_sel_hi:[0,0,0] cbsz:4 blgp:4// 000000003CA0: D3AC6800 000391D0 D3AD8C20 8482118C
	ds_read_b128 v[72:75], v220 offset:16896                   // 000000003CB0: D9FE4200 480000DC
	v_mfma_scale_f32_16x16x128_f8f6f4 a[36:39], v[140:143], v[12:15], a[36:39], v208, v200 op_sel_hi:[0,0,0] cbsz:4 blgp:4// 000000003CB8: D3AC7800 000391D0 D3AD8C24 8492198C
	v_mfma_scale_f32_16x16x128_f8f6f4 a[8:11], v[136:139], v[16:19], a[8:11], v208, v201 op_sel_hi:[0,0,0] cbsz:4 blgp:4// 000000003CC8: D3AC6000 000393D0 D3AD8C08 84222188
	v_mfma_scale_f32_16x16x128_f8f6f4 a[12:15], v[136:139], v[20:23], a[12:15], v208, v201 op_sel_hi:[0,0,0] cbsz:4 blgp:4// 000000003CD8: D3AC7000 000393D0 D3AD8C0C 84322988
	buffer_load_dwordx4 v[172:175], v226, s[16:19], 0 offen    // 000000003CE8: E05C1000 8004ACE2
	v_mfma_scale_f32_16x16x128_f8f6f4 a[40:43], v[140:143], v[16:19], a[40:43], v208, v201 op_sel_hi:[0,0,0] cbsz:4 blgp:4// 000000003CF0: D3AC6800 000393D0 D3AD8C28 84A2218C
	ds_read_b128 v[104:107], v220 offset:16960                 // 000000003D00: D9FE4240 680000DC
	v_mfma_scale_f32_16x16x128_f8f6f4 a[44:47], v[140:143], v[20:23], a[44:47], v208, v201 op_sel_hi:[0,0,0] cbsz:4 blgp:4// 000000003D08: D3AC7800 000393D0 D3AD8C2C 84B2298C
	v_mfma_scale_f32_16x16x128_f8f6f4 a[16:19], v[136:139], v[24:27], a[16:19], v208, v202 op_sel_hi:[0,0,0] cbsz:4 blgp:4// 000000003D18: D3AC6000 000395D0 D3AD8C10 84423188
	v_mfma_scale_f32_16x16x128_f8f6f4 a[20:23], v[136:139], v[28:31], a[20:23], v208, v202 op_sel_hi:[0,0,0] cbsz:4 blgp:4// 000000003D28: D3AC7000 000395D0 D3AD8C14 84523988
	buffer_load_dwordx4 v[176:179], v227, s[16:19], 0 offen    // 000000003D38: E05C1000 8004B0E3
	v_mfma_scale_f32_16x16x128_f8f6f4 a[48:51], v[140:143], v[24:27], a[48:51], v208, v202 op_sel_hi:[0,0,0] cbsz:4 blgp:4// 000000003D40: D3AC6800 000395D0 D3AD8C30 84C2318C
	ds_read_b128 v[76:79], v220 offset:17408                   // 000000003D50: D9FE4400 4C0000DC
	v_mfma_scale_f32_16x16x128_f8f6f4 a[52:55], v[140:143], v[28:31], a[52:55], v208, v202 op_sel_hi:[0,0,0] cbsz:4 blgp:4// 000000003D58: D3AC7800 000395D0 D3AD8C34 84D2398C
	v_mfma_scale_f32_16x16x128_f8f6f4 a[24:27], v[136:139], v[32:35], a[24:27], v208, v203 op_sel_hi:[0,0,0] cbsz:4 blgp:4// 000000003D68: D3AC6000 000397D0 D3AD8C18 84624188
	v_mfma_scale_f32_16x16x128_f8f6f4 a[28:31], v[136:139], v[36:39], a[28:31], v208, v203 op_sel_hi:[0,0,0] cbsz:4 blgp:4// 000000003D78: D3AC7000 000397D0 D3AD8C1C 84724988
	buffer_load_dwordx4 v[180:183], v228, s[16:19], 0 offen    // 000000003D88: E05C1000 8004B4E4
	v_mfma_scale_f32_16x16x128_f8f6f4 a[56:59], v[140:143], v[32:35], a[56:59], v208, v203 op_sel_hi:[0,0,0] cbsz:4 blgp:4// 000000003D90: D3AC6800 000397D0 D3AD8C38 84E2418C
	ds_read_b128 v[108:111], v220 offset:17472                 // 000000003DA0: D9FE4440 6C0000DC
	v_mfma_scale_f32_16x16x128_f8f6f4 a[60:63], v[140:143], v[36:39], a[60:63], v208, v203 op_sel_hi:[0,0,0] cbsz:4 blgp:4// 000000003DA8: D3AC7800 000397D0 D3AD8C3C 84F2498C
	v_mfma_scale_f32_16x16x128_f8f6f4 a[64:67], v[144:147], v[8:11], a[64:67], v209, v200 op_sel_hi:[0,0,0] cbsz:4 blgp:4// 000000003DB8: D3AC6000 000391D1 D3AD8C40 85021190
	v_mfma_scale_f32_16x16x128_f8f6f4 a[68:71], v[144:147], v[12:15], a[68:71], v209, v200 op_sel_hi:[0,0,0] cbsz:4 blgp:4// 000000003DC8: D3AC7000 000391D1 D3AD8C44 85121990
	buffer_load_dwordx4 v[184:187], v229, s[16:19], 0 offen    // 000000003DD8: E05C1000 8004B8E5
	v_mfma_scale_f32_16x16x128_f8f6f4 a[96:99], v[148:151], v[8:11], a[96:99], v209, v200 op_sel_hi:[0,0,0] cbsz:4 blgp:4// 000000003DE0: D3AC6800 000391D1 D3AD8C60 85821194
	ds_read_b128 v[80:83], v220 offset:21120                   // 000000003DF0: D9FE5280 500000DC
	v_mfma_scale_f32_16x16x128_f8f6f4 a[100:103], v[148:151], v[12:15], a[100:103], v209, v200 op_sel_hi:[0,0,0] cbsz:4 blgp:4// 000000003DF8: D3AC7800 000391D1 D3AD8C64 85921994
	v_mfma_scale_f32_16x16x128_f8f6f4 a[72:75], v[144:147], v[16:19], a[72:75], v209, v201 op_sel_hi:[0,0,0] cbsz:4 blgp:4// 000000003E08: D3AC6000 000393D1 D3AD8C48 85222190
	v_mfma_scale_f32_16x16x128_f8f6f4 a[76:79], v[144:147], v[20:23], a[76:79], v209, v201 op_sel_hi:[0,0,0] cbsz:4 blgp:4// 000000003E18: D3AC7000 000393D1 D3AD8C4C 85322990
	buffer_load_dwordx4 v[188:191], v230, s[16:19], 0 offen    // 000000003E28: E05C1000 8004BCE6
	v_mfma_scale_f32_16x16x128_f8f6f4 a[104:107], v[148:151], v[16:19], a[104:107], v209, v201 op_sel_hi:[0,0,0] cbsz:4 blgp:4// 000000003E30: D3AC6800 000393D1 D3AD8C68 85A22194
	ds_read_b128 v[112:115], v220 offset:21184                 // 000000003E40: D9FE52C0 700000DC
	v_mfma_scale_f32_16x16x128_f8f6f4 a[108:111], v[148:151], v[20:23], a[108:111], v209, v201 op_sel_hi:[0,0,0] cbsz:4 blgp:4// 000000003E48: D3AC7800 000393D1 D3AD8C6C 85B22994
	v_mfma_scale_f32_16x16x128_f8f6f4 a[80:83], v[144:147], v[24:27], a[80:83], v209, v202 op_sel_hi:[0,0,0] cbsz:4 blgp:4// 000000003E58: D3AC6000 000395D1 D3AD8C50 85423190
	v_mfma_scale_f32_16x16x128_f8f6f4 a[84:87], v[144:147], v[28:31], a[84:87], v209, v202 op_sel_hi:[0,0,0] cbsz:4 blgp:4// 000000003E68: D3AC7000 000395D1 D3AD8C54 85523990
	buffer_load_dwordx4 v[192:195], v231, s[16:19], 0 offen    // 000000003E78: E05C1000 8004C0E7
	v_mfma_scale_f32_16x16x128_f8f6f4 a[112:115], v[148:151], v[24:27], a[112:115], v209, v202 op_sel_hi:[0,0,0] cbsz:4 blgp:4// 000000003E80: D3AC6800 000395D1 D3AD8C70 85C23194
	ds_read_b128 v[84:87], v220 offset:21632                   // 000000003E90: D9FE5480 540000DC
	v_mfma_scale_f32_16x16x128_f8f6f4 a[116:119], v[148:151], v[28:31], a[116:119], v209, v202 op_sel_hi:[0,0,0] cbsz:4 blgp:4// 000000003E98: D3AC7800 000395D1 D3AD8C74 85D23994
	v_mfma_scale_f32_16x16x128_f8f6f4 a[88:91], v[144:147], v[32:35], a[88:91], v209, v203 op_sel_hi:[0,0,0] cbsz:4 blgp:4// 000000003EA8: D3AC6000 000397D1 D3AD8C58 85624190
	v_mfma_scale_f32_16x16x128_f8f6f4 a[92:95], v[144:147], v[36:39], a[92:95], v209, v203 op_sel_hi:[0,0,0] cbsz:4 blgp:4// 000000003EB8: D3AC7000 000397D1 D3AD8C5C 85724990
	buffer_load_dwordx4 v[196:199], v232, s[16:19], 0 offen    // 000000003EC8: E05C1000 8004C4E8
	v_mfma_scale_f32_16x16x128_f8f6f4 a[120:123], v[148:151], v[32:35], a[120:123], v209, v203 op_sel_hi:[0,0,0] cbsz:4 blgp:4// 000000003ED0: D3AC6800 000397D1 D3AD8C78 85E24194
	ds_read_b128 v[116:119], v220 offset:21696                 // 000000003EE0: D9FE54C0 740000DC
	v_mfma_scale_f32_16x16x128_f8f6f4 a[124:127], v[148:151], v[36:39], a[124:127], v209, v203 op_sel_hi:[0,0,0] cbsz:4 blgp:4// 000000003EE8: D3AC7800 000397D1 D3AD8C7C 85F24994
	v_mfma_scale_f32_16x16x128_f8f6f4 a[0:3], v[152:155], v[40:43], a[0:3], v208, v200 op_sel_hi:[0,0,0] cbsz:4 blgp:4// 000000003EF8: D3AC6000 180391D0 D3AD8C00 84025198
	v_mfma_scale_f32_16x16x128_f8f6f4 a[4:7], v[152:155], v[44:47], a[4:7], v208, v200 op_sel_hi:[0,0,0] cbsz:4 blgp:4// 000000003F08: D3AC7000 180391D0 D3AD8C04 84125998
	buffer_load_dword v210, v233, s[24:27], 0 offen            // 000000003F18: E0501000 8006D2E9
	v_mfma_scale_f32_16x16x128_f8f6f4 a[32:35], v[156:159], v[40:43], a[32:35], v208, v200 op_sel_hi:[0,0,0] cbsz:4 blgp:4// 000000003F20: D3AC6800 180391D0 D3AD8C20 8482519C
	ds_read_b128 v[88:91], v220 offset:25344                   // 000000003F30: D9FE6300 580000DC
	v_mfma_scale_f32_16x16x128_f8f6f4 a[36:39], v[156:159], v[44:47], a[36:39], v208, v200 op_sel_hi:[0,0,0] cbsz:4 blgp:4// 000000003F38: D3AC7800 180391D0 D3AD8C24 8492599C
	v_mfma_scale_f32_16x16x128_f8f6f4 a[8:11], v[152:155], v[48:51], a[8:11], v208, v201 op_sel_hi:[0,0,0] cbsz:4 blgp:4// 000000003F48: D3AC6000 180393D0 D3AD8C08 84226198
	v_mfma_scale_f32_16x16x128_f8f6f4 a[12:15], v[152:155], v[52:55], a[12:15], v208, v201 op_sel_hi:[0,0,0] cbsz:4 blgp:4// 000000003F58: D3AC7000 180393D0 D3AD8C0C 84326998
	buffer_load_dword v211, v234, s[24:27], 0 offen            // 000000003F68: E0501000 8006D3EA
	v_mfma_scale_f32_16x16x128_f8f6f4 a[40:43], v[156:159], v[48:51], a[40:43], v208, v201 op_sel_hi:[0,0,0] cbsz:4 blgp:4// 000000003F70: D3AC6800 180393D0 D3AD8C28 84A2619C
	ds_read_b128 v[120:123], v220 offset:25408                 // 000000003F80: D9FE6340 780000DC
	v_mfma_scale_f32_16x16x128_f8f6f4 a[44:47], v[156:159], v[52:55], a[44:47], v208, v201 op_sel_hi:[0,0,0] cbsz:4 blgp:4// 000000003F88: D3AC7800 180393D0 D3AD8C2C 84B2699C
	v_mfma_scale_f32_16x16x128_f8f6f4 a[16:19], v[152:155], v[56:59], a[16:19], v208, v202 op_sel_hi:[0,0,0] cbsz:4 blgp:4// 000000003F98: D3AC6000 180395D0 D3AD8C10 84427198
	s_add_u32 s53, 0x200, s50                                  // 000000003FA8: 803532FF 00000200
	v_mfma_scale_f32_16x16x128_f8f6f4 a[20:23], v[152:155], v[60:63], a[20:23], v208, v202 op_sel_hi:[0,0,0] cbsz:4 blgp:4// 000000003FB0: D3AC7000 180395D0 D3AD8C14 84527998
	ds_read_b128 v[92:95], v220 offset:25856                   // 000000003FC0: D9FE6500 5C0000DC
	v_mfma_scale_f32_16x16x128_f8f6f4 a[48:51], v[156:159], v[56:59], a[48:51], v208, v202 op_sel_hi:[0,0,0] cbsz:4 blgp:4// 000000003FC8: D3AC6800 180395D0 D3AD8C30 84C2719C
	s_cmp_lt_u32 s53, s51                                      // 000000003FD8: BF0A3335
	v_mfma_scale_f32_16x16x128_f8f6f4 a[52:55], v[156:159], v[60:63], a[52:55], v208, v202 op_sel_hi:[0,0,0] cbsz:4 blgp:4// 000000003FDC: D3AC7800 180395D0 D3AD8C34 84D2799C
	ds_read_b128 v[124:127], v220 offset:25920                 // 000000003FEC: D9FE6540 7C0000DC
	v_mfma_scale_f32_16x16x128_f8f6f4 a[24:27], v[152:155], v[64:67], a[24:27], v208, v203 op_sel_hi:[0,0,0] cbsz:4 blgp:4// 000000003FF4: D3AC6000 180397D0 D3AD8C18 84628198
	s_cselect_b32 s62, s62, 0                                  // 000000004004: 853E803E
	v_mfma_scale_f32_16x16x128_f8f6f4 a[28:31], v[152:155], v[68:71], a[28:31], v208, v203 op_sel_hi:[0,0,0] cbsz:4 blgp:4// 000000004008: D3AC7000 180397D0 D3AD8C1C 84728998
	ds_read_b128 v[96:99], v220 offset:29568                   // 000000004018: D9FE7380 600000DC
	v_mfma_scale_f32_16x16x128_f8f6f4 a[56:59], v[156:159], v[64:67], a[56:59], v208, v203 op_sel_hi:[0,0,0] cbsz:4 blgp:4// 000000004020: D3AC6800 180397D0 D3AD8C38 84E2819C
	s_cselect_b32 s64, s64, 0                                  // 000000004030: 85408040
	v_mfma_scale_f32_16x16x128_f8f6f4 a[60:63], v[156:159], v[68:71], a[60:63], v208, v203 op_sel_hi:[0,0,0] cbsz:4 blgp:4// 000000004034: D3AC7800 180397D0 D3AD8C3C 84F2899C
	ds_read_b128 v[128:131], v220 offset:29632                 // 000000004044: D9FE73C0 800000DC
	v_mfma_scale_f32_16x16x128_f8f6f4 a[64:67], v[160:163], v[40:43], a[64:67], v209, v200 op_sel_hi:[0,0,0] cbsz:4 blgp:4// 00000000404C: D3AC6000 180391D1 D3AD8C40 850251A0
	s_add_u32 s16, s62, s16                                    // 00000000405C: 8010103E
	v_mfma_scale_f32_16x16x128_f8f6f4 a[68:71], v[160:163], v[44:47], a[68:71], v209, v200 op_sel_hi:[0,0,0] cbsz:4 blgp:4// 000000004060: D3AC7000 180391D1 D3AD8C44 851259A0
	ds_read_b128 v[100:103], v220 offset:30080                 // 000000004070: D9FE7580 640000DC
	v_mfma_scale_f32_16x16x128_f8f6f4 a[96:99], v[164:167], v[40:43], a[96:99], v209, v200 op_sel_hi:[0,0,0] cbsz:4 blgp:4// 000000004078: D3AC6800 180391D1 D3AD8C60 858251A4
	s_addc_u32 s17, 0, s17                                     // 000000004088: 82111180
	v_mfma_scale_f32_16x16x128_f8f6f4 a[100:103], v[164:167], v[44:47], a[100:103], v209, v200 op_sel_hi:[0,0,0] cbsz:4 blgp:4// 00000000408C: D3AC7800 180391D1 D3AD8C64 859259A4
	ds_read_b128 v[132:135], v220 offset:30144                 // 00000000409C: D9FE75C0 840000DC
	v_mfma_scale_f32_16x16x128_f8f6f4 a[72:75], v[160:163], v[48:51], a[72:75], v209, v201 op_sel_hi:[0,0,0] cbsz:4 blgp:4// 0000000040A4: D3AC6000 180393D1 D3AD8C48 852261A0
	s_sub_u32 s18, s18, s62                                    // 0000000040B4: 80923E12
	v_mfma_scale_f32_16x16x128_f8f6f4 a[76:79], v[160:163], v[52:55], a[76:79], v209, v201 op_sel_hi:[0,0,0] cbsz:4 blgp:4// 0000000040B8: D3AC7000 180393D1 D3AD8C4C 853269A0
	ds_read_b32 v204, v224 offset:1024                         // 0000000040C8: D86C0400 CC0000E0
	v_mfma_scale_f32_16x16x128_f8f6f4 a[104:107], v[164:167], v[48:51], a[104:107], v209, v201 op_sel_hi:[0,0,0] cbsz:4 blgp:4// 0000000040D0: D3AC6800 180393D1 D3AD8C68 85A261A4
	s_add_u32 s24, s64, s24                                    // 0000000040E0: 80181840
	v_mfma_scale_f32_16x16x128_f8f6f4 a[108:111], v[164:167], v[52:55], a[108:111], v209, v201 op_sel_hi:[0,0,0] cbsz:4 blgp:4// 0000000040E4: D3AC7800 180393D1 D3AD8C6C 85B269A4
	ds_read_b32 v205, v224 offset:1280                         // 0000000040F4: D86C0500 CD0000E0
	v_mfma_scale_f32_16x16x128_f8f6f4 a[80:83], v[160:163], v[56:59], a[80:83], v209, v202 op_sel_hi:[0,0,0] cbsz:4 blgp:4// 0000000040FC: D3AC6000 180395D1 D3AD8C50 854271A0
	s_addc_u32 s25, 0, s25                                     // 00000000410C: 82191980
	v_mfma_scale_f32_16x16x128_f8f6f4 a[84:87], v[160:163], v[60:63], a[84:87], v209, v202 op_sel_hi:[0,0,0] cbsz:4 blgp:4// 000000004110: D3AC7000 180395D1 D3AD8C54 855279A0
	ds_read_b32 v206, v224 offset:1536                         // 000000004120: D86C0600 CE0000E0
	v_mfma_scale_f32_16x16x128_f8f6f4 a[112:115], v[164:167], v[56:59], a[112:115], v209, v202 op_sel_hi:[0,0,0] cbsz:4 blgp:4// 000000004128: D3AC4800 180395D1 D3AD8C70 85C271A4
	s_sub_u32 s26, s26, s64                                    // 000000004138: 809A401A
	v_mfma_scale_f32_16x16x128_f8f6f4 a[116:119], v[164:167], v[60:63], a[116:119], v209, v202 op_sel_hi:[0,0,0] cbsz:4 blgp:4// 00000000413C: D3AC7800 180395D1 D3AD8C74 85D279A4
	ds_read_b32 v207, v224 offset:1792                         // 00000000414C: D86C0700 CF0000E0
	v_mfma_scale_f32_16x16x128_f8f6f4 a[88:91], v[160:163], v[64:67], a[88:91], v209, v203 op_sel_hi:[0,0,0] cbsz:4 blgp:4// 000000004154: D3AC6000 180397D1 D3AD8C58 856281A0
	v_mfma_scale_f32_16x16x128_f8f6f4 a[92:95], v[160:163], v[68:71], a[92:95], v209, v203 op_sel_hi:[0,0,0] cbsz:4 blgp:4// 000000004164: D3AC7000 180397D1 D3AD8C5C 857289A0
	v_mfma_scale_f32_16x16x128_f8f6f4 a[120:123], v[164:167], v[64:67], a[120:123], v209, v203 op_sel_hi:[0,0,0] cbsz:4 blgp:4// 000000004174: D3AC6800 180397D1 D3AD8C78 85E281A4
	v_mfma_scale_f32_16x16x128_f8f6f4 a[124:127], v[164:167], v[68:71], a[124:127], v209, v203 op_sel_hi:[0,0,0] cbsz:4 blgp:4// 000000004184: D3AC7800 180397D1 D3AD8C7C 85F289A4
	s_waitcnt vmcnt(15) lgkmcnt(0)                             // 000000004194: BF8C007F
	v_mfma_scale_f32_16x16x128_f8f6f4 a[128:131], v[136:139], v[72:75], a[128:131], v208, v204 op_sel_hi:[0,0,0] cbsz:4 blgp:4// 000000004198: D3AC6000 000399D0 D3AD8C80 86029188
	s_barrier                                                  // 0000000041A8: BF8A0000
	s_nop 0                                                    // 0000000041AC: BF800000
	v_mfma_scale_f32_16x16x128_f8f6f4 a[132:135], v[136:139], v[76:79], a[132:135], v208, v204 op_sel_hi:[0,0,0] cbsz:4 blgp:4// 0000000041B0: D3AC7000 000399D0 D3AD8C84 86129988
	s_add_u32 m0, 0, s59                                       // 0000000041C0: 807C3B80
	v_mfma_scale_f32_16x16x128_f8f6f4 a[160:163], v[140:143], v[72:75], a[160:163], v208, v204 op_sel_hi:[0,0,0] cbsz:4 blgp:4// 0000000041C4: D3AC6800 000399D0 D3AD8CA0 8682918C
	ds_read_b128 v[8:11], v221                                 // 0000000041D4: D9FE0000 080000DD
	v_mfma_scale_f32_16x16x128_f8f6f4 a[164:167], v[140:143], v[76:79], a[164:167], v208, v204 op_sel_hi:[0,0,0] cbsz:4 blgp:4// 0000000041DC: D3AC7800 000399D0 D3AD8CA4 8692998C
	buffer_load_dwordx4 v212, s[12:15], 0 offen lds            // 0000000041EC: E05D1000 800300D4
	v_mfma_scale_f32_16x16x128_f8f6f4 a[136:139], v[136:139], v[80:83], a[136:139], v208, v205 op_sel_hi:[0,0,0] cbsz:4 blgp:4// 0000000041F4: D3AC6000 00039BD0 D3AD8C88 8622A188
	ds_read_b128 v[40:43], v221 offset:64                      // 000000004204: D9FE0040 280000DD
	v_mfma_scale_f32_16x16x128_f8f6f4 a[140:143], v[136:139], v[84:87], a[140:143], v208, v205 op_sel_hi:[0,0,0] cbsz:4 blgp:4// 00000000420C: D3AC7000 00039BD0 D3AD8C8C 8632A988
	s_add_u32 m0, 0x1080, s59                                  // 00000000421C: 807C3BFF 00001080
	v_mfma_scale_f32_16x16x128_f8f6f4 a[168:171], v[140:143], v[80:83], a[168:171], v208, v205 op_sel_hi:[0,0,0] cbsz:4 blgp:4// 000000004224: D3AC6800 00039BD0 D3AD8CA8 86A2A18C
	ds_read_b128 v[12:15], v221 offset:512                     // 000000004234: D9FE0200 0C0000DD
	v_mfma_scale_f32_16x16x128_f8f6f4 a[172:175], v[140:143], v[84:87], a[172:175], v208, v205 op_sel_hi:[0,0,0] cbsz:4 blgp:4// 00000000423C: D3AC7800 00039BD0 D3AD8CAC 86B2A98C
	buffer_load_dwordx4 v213, s[12:15], 0 offen lds            // 00000000424C: E05D1000 800300D5
	v_mfma_scale_f32_16x16x128_f8f6f4 a[144:147], v[136:139], v[88:91], a[144:147], v208, v206 op_sel_hi:[0,0,0] cbsz:4 blgp:4// 000000004254: D3AC4000 00039DD0 D3AD8C90 8642B188
	ds_read_b128 v[44:47], v221 offset:576                     // 000000004264: D9FE0240 2C0000DD
	v_mfma_scale_f32_16x16x128_f8f6f4 a[148:151], v[136:139], v[92:95], a[148:151], v208, v206 op_sel_hi:[0,0,0] cbsz:4 blgp:4// 00000000426C: D3AC7000 00039DD0 D3AD8C94 8652B988
	s_add_u32 m0, 0x2100, s59                                  // 00000000427C: 807C3BFF 00002100
	v_mfma_scale_f32_16x16x128_f8f6f4 a[176:179], v[140:143], v[88:91], a[176:179], v208, v206 op_sel_hi:[0,0,0] cbsz:4 blgp:4// 000000004284: D3AC6800 00039DD0 D3AD8CB0 86C2B18C
	ds_read_b128 v[16:19], v221 offset:4224                    // 000000004294: D9FE1080 100000DD
	v_mfma_scale_f32_16x16x128_f8f6f4 a[180:183], v[140:143], v[92:95], a[180:183], v208, v206 op_sel_hi:[0,0,0] cbsz:4 blgp:4// 00000000429C: D3AC7800 00039DD0 D3AD8CB4 86D2B98C
	buffer_load_dwordx4 v214, s[12:15], 0 offen lds            // 0000000042AC: E05D1000 800300D6
	v_mfma_scale_f32_16x16x128_f8f6f4 a[152:155], v[136:139], v[96:99], a[152:155], v208, v207 op_sel_hi:[0,0,0] cbsz:4 blgp:4// 0000000042B4: D3AC4000 00039FD0 D3AD8C98 8662C188
	ds_read_b128 v[48:51], v221 offset:4288                    // 0000000042C4: D9FE10C0 300000DD
	v_mfma_scale_f32_16x16x128_f8f6f4 a[156:159], v[136:139], v[100:103], a[156:159], v208, v207 op_sel_hi:[0,0,0] cbsz:4 blgp:4// 0000000042CC: D3AC7000 00039FD0 D3AD8C9C 8672C988
	s_add_u32 m0, 0x3180, s59                                  // 0000000042DC: 807C3BFF 00003180
	v_mfma_scale_f32_16x16x128_f8f6f4 a[184:187], v[140:143], v[96:99], a[184:187], v208, v207 op_sel_hi:[0,0,0] cbsz:4 blgp:4// 0000000042E4: D3AC6800 00039FD0 D3AD8CB8 86E2C18C
	ds_read_b128 v[20:23], v221 offset:4736                    // 0000000042F4: D9FE1280 140000DD
	v_mfma_scale_f32_16x16x128_f8f6f4 a[188:191], v[140:143], v[100:103], a[188:191], v208, v207 op_sel_hi:[0,0,0] cbsz:4 blgp:4// 0000000042FC: D3AC7800 00039FD0 D3AD8CBC 86F2C98C
	buffer_load_dwordx4 v215, s[12:15], 0 offen lds            // 00000000430C: E05D1000 800300D7
	v_mfma_scale_f32_16x16x128_f8f6f4 a[192:195], v[144:147], v[72:75], a[192:195], v209, v204 op_sel_hi:[0,0,0] cbsz:4 blgp:4// 000000004314: D3AC4000 000399D1 D3AD8CC0 87029190
	ds_read_b128 v[52:55], v221 offset:4800                    // 000000004324: D9FE12C0 340000DD
	v_mfma_scale_f32_16x16x128_f8f6f4 a[196:199], v[144:147], v[76:79], a[196:199], v209, v204 op_sel_hi:[0,0,0] cbsz:4 blgp:4// 00000000432C: D3AC7000 000399D1 D3AD8CC4 87129990
	s_add_u32 m0, 0, s60                                       // 00000000433C: 807C3C80
	v_mfma_scale_f32_16x16x128_f8f6f4 a[224:227], v[148:151], v[72:75], a[224:227], v209, v204 op_sel_hi:[0,0,0] cbsz:4 blgp:4// 000000004340: D3AC4800 000399D1 D3AD8CE0 87829194
	ds_read_b128 v[24:27], v221 offset:8448                    // 000000004350: D9FE2100 180000DD
	v_mfma_scale_f32_16x16x128_f8f6f4 a[228:231], v[148:151], v[76:79], a[228:231], v209, v204 op_sel_hi:[0,0,0] cbsz:4 blgp:4// 000000004358: D3AC7800 000399D1 D3AD8CE4 87929994
	buffer_load_dword v222, s[20:23], 0 offen lds              // 000000004368: E0511000 800500DE
	v_mfma_scale_f32_16x16x128_f8f6f4 a[200:203], v[144:147], v[80:83], a[200:203], v209, v205 op_sel_hi:[0,0,0] cbsz:4 blgp:4// 000000004370: D3AC4000 00039BD1 D3AD8CC8 8722A190
	ds_read_b128 v[56:59], v221 offset:8512                    // 000000004380: D9FE2140 380000DD
	v_mfma_scale_f32_16x16x128_f8f6f4 a[204:207], v[144:147], v[84:87], a[204:207], v209, v205 op_sel_hi:[0,0,0] cbsz:4 blgp:4// 000000004388: D3AC7000 00039BD1 D3AD8CCC 8732A990
	s_add_u32 m0, 0x4200, s59                                  // 000000004398: 807C3BFF 00004200
	v_mfma_scale_f32_16x16x128_f8f6f4 a[232:235], v[148:151], v[80:83], a[232:235], v209, v205 op_sel_hi:[0,0,0] cbsz:4 blgp:4// 0000000043A0: D3AC6800 00039BD1 D3AD8CE8 87A2A194
	ds_read_b128 v[28:31], v221 offset:8960                    // 0000000043B0: D9FE2300 1C0000DD
	v_mfma_scale_f32_16x16x128_f8f6f4 a[236:239], v[148:151], v[84:87], a[236:239], v209, v205 op_sel_hi:[0,0,0] cbsz:4 blgp:4// 0000000043B8: D3AC7800 00039BD1 D3AD8CEC 87B2A994
	buffer_load_dwordx4 v216, s[12:15], 0 offen lds            // 0000000043C8: E05D1000 800300D8
	v_mfma_scale_f32_16x16x128_f8f6f4 a[208:211], v[144:147], v[88:91], a[208:211], v209, v206 op_sel_hi:[0,0,0] cbsz:4 blgp:4// 0000000043D0: D3AC4000 00039DD1 D3AD8CD0 8742B190
	ds_read_b128 v[60:63], v221 offset:9024                    // 0000000043E0: D9FE2340 3C0000DD
	v_mfma_scale_f32_16x16x128_f8f6f4 a[212:215], v[144:147], v[92:95], a[212:215], v209, v206 op_sel_hi:[0,0,0] cbsz:4 blgp:4// 0000000043E8: D3AC7000 00039DD1 D3AD8CD4 8752B990
	s_add_u32 m0, 0x5280, s59                                  // 0000000043F8: 807C3BFF 00005280
	v_mfma_scale_f32_16x16x128_f8f6f4 a[240:243], v[148:151], v[88:91], a[240:243], v209, v206 op_sel_hi:[0,0,0] cbsz:4 blgp:4// 000000004400: D3AC2800 00039DD1 D3AD8CF0 87C2B194
	ds_read_b128 v[32:35], v221 offset:12672                   // 000000004410: D9FE3180 200000DD
	v_mfma_scale_f32_16x16x128_f8f6f4 a[244:247], v[148:151], v[92:95], a[244:247], v209, v206 op_sel_hi:[0,0,0] cbsz:4 blgp:4// 000000004418: D3AC7800 00039DD1 D3AD8CF4 87D2B994
	buffer_load_dwordx4 v217, s[12:15], 0 offen lds            // 000000004428: E05D1000 800300D9
	v_mfma_scale_f32_16x16x128_f8f6f4 a[216:219], v[144:147], v[96:99], a[216:219], v209, v207 op_sel_hi:[0,0,0] cbsz:4 blgp:4// 000000004430: D3AC6000 00039FD1 D3AD8CD8 8762C190
	ds_read_b128 v[64:67], v221 offset:12736                   // 000000004440: D9FE31C0 400000DD
	v_mfma_scale_f32_16x16x128_f8f6f4 a[220:223], v[144:147], v[100:103], a[220:223], v209, v207 op_sel_hi:[0,0,0] cbsz:4 blgp:4// 000000004448: D3AC3000 00039FD1 D3AD8CDC 8772C990
	s_add_u32 m0, 0x6300, s59                                  // 000000004458: 807C3BFF 00006300
	v_mfma_scale_f32_16x16x128_f8f6f4 a[248:251], v[148:151], v[96:99], a[248:251], v209, v207 op_sel_hi:[0,0,0] cbsz:4 blgp:4// 000000004460: D3AC6800 00039FD1 D3AD8CF8 87E2C194
	ds_read_b128 v[36:39], v221 offset:13184                   // 000000004470: D9FE3380 240000DD
	v_mfma_scale_f32_16x16x128_f8f6f4 a[252:255], v[148:151], v[100:103], a[252:255], v209, v207 op_sel_hi:[0,0,0] cbsz:4 blgp:4// 000000004478: D3AC7800 00039FD1 D3AD8CFC 87F2C994
	buffer_load_dwordx4 v218, s[12:15], 0 offen lds            // 000000004488: E05D1000 800300DA
	v_mfma_scale_f32_16x16x128_f8f6f4 a[128:131], v[152:155], v[104:107], a[128:131], v208, v204 op_sel_hi:[0,0,0] cbsz:4 blgp:4// 000000004490: D3AC6000 180399D0 D3AD8C80 8602D198
	ds_read_b128 v[68:71], v221 offset:13248                   // 0000000044A0: D9FE33C0 440000DD
	v_mfma_scale_f32_16x16x128_f8f6f4 a[132:135], v[152:155], v[108:111], a[132:135], v208, v204 op_sel_hi:[0,0,0] cbsz:4 blgp:4// 0000000044A8: D3AC7000 180399D0 D3AD8C84 8612D998
	s_add_u32 m0, 0x7380, s59                                  // 0000000044B8: 807C3BFF 00007380
	v_mfma_scale_f32_16x16x128_f8f6f4 a[160:163], v[156:159], v[104:107], a[160:163], v208, v204 op_sel_hi:[0,0,0] cbsz:4 blgp:4// 0000000044C0: D3AC6800 180399D0 D3AD8CA0 8682D19C
	ds_read_b32 v200, v224 offset:2048                         // 0000000044D0: D86C0800 C80000E0
	v_mfma_scale_f32_16x16x128_f8f6f4 a[164:167], v[156:159], v[108:111], a[164:167], v208, v204 op_sel_hi:[0,0,0] cbsz:4 blgp:4// 0000000044D8: D3AC7800 180399D0 D3AD8CA4 8692D99C
	buffer_load_dwordx4 v219, s[12:15], 0 offen lds            // 0000000044E8: E05D1000 800300DB
	v_mfma_scale_f32_16x16x128_f8f6f4 a[136:139], v[152:155], v[112:115], a[136:139], v208, v205 op_sel_hi:[0,0,0] cbsz:4 blgp:4// 0000000044F0: D3AC6000 18039BD0 D3AD8C88 8622E198
	ds_read_b32 v201, v224 offset:2304                         // 000000004500: D86C0900 C90000E0
	v_mfma_scale_f32_16x16x128_f8f6f4 a[140:143], v[152:155], v[116:119], a[140:143], v208, v205 op_sel_hi:[0,0,0] cbsz:4 blgp:4// 000000004508: D3AC7000 18039BD0 D3AD8C8C 8632E998
	s_add_u32 m0, 0x400, s60                                   // 000000004518: 807C3CFF 00000400
	v_mfma_scale_f32_16x16x128_f8f6f4 a[168:171], v[156:159], v[112:115], a[168:171], v208, v205 op_sel_hi:[0,0,0] cbsz:4 blgp:4// 000000004520: D3AC6800 18039BD0 D3AD8CA8 86A2E19C
	ds_read_b32 v202, v224 offset:2560                         // 000000004530: D86C0A00 CA0000E0
	v_mfma_scale_f32_16x16x128_f8f6f4 a[172:175], v[156:159], v[116:119], a[172:175], v208, v205 op_sel_hi:[0,0,0] cbsz:4 blgp:4// 000000004538: D3AC7800 18039BD0 D3AD8CAC 86B2E99C
	buffer_load_dword v223, s[20:23], 0 offen lds              // 000000004548: E0511000 800500DF
	v_mfma_scale_f32_16x16x128_f8f6f4 a[144:147], v[152:155], v[120:123], a[144:147], v208, v206 op_sel_hi:[0,0,0] cbsz:4 blgp:4// 000000004550: D3AC6000 18039DD0 D3AD8C90 8642F198
	ds_read_b32 v203, v224 offset:2816                         // 000000004560: D86C0B00 CB0000E0
	v_mfma_scale_f32_16x16x128_f8f6f4 a[148:151], v[152:155], v[124:127], a[148:151], v208, v206 op_sel_hi:[0,0,0] cbsz:4 blgp:4// 000000004568: D3AC7000 18039DD0 D3AD8C94 8652F998
	s_add_u32 s52, 0x300, s50                                  // 000000004578: 803432FF 00000300
	v_mfma_scale_f32_16x16x128_f8f6f4 a[176:179], v[156:159], v[120:123], a[176:179], v208, v206 op_sel_hi:[0,0,0] cbsz:4 blgp:4// 000000004580: D3AC6800 18039DD0 D3AD8CB0 86C2F19C
	v_mfma_scale_f32_16x16x128_f8f6f4 a[180:183], v[156:159], v[124:127], a[180:183], v208, v206 op_sel_hi:[0,0,0] cbsz:4 blgp:4// 000000004590: D3AC7800 18039DD0 D3AD8CB4 86D2F99C
	s_cmp_lt_u32 s52, s51                                      // 0000000045A0: BF0A3334
	v_mfma_scale_f32_16x16x128_f8f6f4 a[152:155], v[152:155], v[128:131], a[152:155], v208, v207 op_sel_hi:[0,0,0] cbsz:4 blgp:4// 0000000045A4: D3AC6000 18039FD0 D3AD8C98 86630198
	v_mfma_scale_f32_16x16x128_f8f6f4 a[156:159], v[152:155], v[132:135], a[156:159], v208, v207 op_sel_hi:[0,0,0] cbsz:4 blgp:4// 0000000045B4: D3AC7000 18039FD0 D3AD8C9C 86730998
	s_cselect_b32 s61, s61, 0                                  // 0000000045C4: 853D803D
	v_mfma_scale_f32_16x16x128_f8f6f4 a[184:187], v[156:159], v[128:131], a[184:187], v208, v207 op_sel_hi:[0,0,0] cbsz:4 blgp:4// 0000000045C8: D3AC6800 18039FD0 D3AD8CB8 86E3019C
	v_mfma_scale_f32_16x16x128_f8f6f4 a[188:191], v[156:159], v[132:135], a[188:191], v208, v207 op_sel_hi:[0,0,0] cbsz:4 blgp:4// 0000000045D8: D3AC7800 18039FD0 D3AD8CBC 86F3099C
	s_cselect_b32 s63, s63, 0                                  // 0000000045E8: 853F803F
	v_mfma_scale_f32_16x16x128_f8f6f4 a[192:195], v[160:163], v[104:107], a[192:195], v209, v204 op_sel_hi:[0,0,0] cbsz:4 blgp:4// 0000000045EC: D3AC6000 180399D1 D3AD8CC0 8702D1A0
	v_mfma_scale_f32_16x16x128_f8f6f4 a[196:199], v[160:163], v[108:111], a[196:199], v209, v204 op_sel_hi:[0,0,0] cbsz:4 blgp:4// 0000000045FC: D3AC7000 180399D1 D3AD8CC4 8712D9A0
	s_add_u32 s12, s61, s12                                    // 00000000460C: 800C0C3D
	v_mfma_scale_f32_16x16x128_f8f6f4 a[224:227], v[164:167], v[104:107], a[224:227], v209, v204 op_sel_hi:[0,0,0] cbsz:4 blgp:4// 000000004610: D3AC6800 180399D1 D3AD8CE0 8782D1A4
	v_mfma_scale_f32_16x16x128_f8f6f4 a[228:231], v[164:167], v[108:111], a[228:231], v209, v204 op_sel_hi:[0,0,0] cbsz:4 blgp:4// 000000004620: D3AC7800 180399D1 D3AD8CE4 8792D9A4
	s_addc_u32 s13, 0, s13                                     // 000000004630: 820D0D80
	v_mfma_scale_f32_16x16x128_f8f6f4 a[200:203], v[160:163], v[112:115], a[200:203], v209, v205 op_sel_hi:[0,0,0] cbsz:4 blgp:4// 000000004634: D3AC6000 18039BD1 D3AD8CC8 8722E1A0
	v_mfma_scale_f32_16x16x128_f8f6f4 a[204:207], v[160:163], v[116:119], a[204:207], v209, v205 op_sel_hi:[0,0,0] cbsz:4 blgp:4// 000000004644: D3AC7000 18039BD1 D3AD8CCC 8732E9A0
	s_sub_u32 s14, s14, s61                                    // 000000004654: 808E3D0E
	v_mfma_scale_f32_16x16x128_f8f6f4 a[232:235], v[164:167], v[112:115], a[232:235], v209, v205 op_sel_hi:[0,0,0] cbsz:4 blgp:4// 000000004658: D3AC6800 18039BD1 D3AD8CE8 87A2E1A4
	v_mfma_scale_f32_16x16x128_f8f6f4 a[236:239], v[164:167], v[116:119], a[236:239], v209, v205 op_sel_hi:[0,0,0] cbsz:4 blgp:4// 000000004668: D3AC7800 18039BD1 D3AD8CEC 87B2E9A4
	s_add_u32 s20, s63, s20                                    // 000000004678: 8014143F
	v_mfma_scale_f32_16x16x128_f8f6f4 a[208:211], v[160:163], v[120:123], a[208:211], v209, v206 op_sel_hi:[0,0,0] cbsz:4 blgp:4// 00000000467C: D3AC6000 18039DD1 D3AD8CD0 8742F1A0
	v_mfma_scale_f32_16x16x128_f8f6f4 a[212:215], v[160:163], v[124:127], a[212:215], v209, v206 op_sel_hi:[0,0,0] cbsz:4 blgp:4// 00000000468C: D3AC7000 18039DD1 D3AD8CD4 8752F9A0
	s_addc_u32 s21, 0, s21                                     // 00000000469C: 82151580
	v_mfma_scale_f32_16x16x128_f8f6f4 a[240:243], v[164:167], v[120:123], a[240:243], v209, v206 op_sel_hi:[0,0,0] cbsz:4 blgp:4// 0000000046A0: D3AC6800 18039DD1 D3AD8CF0 87C2F1A4
	v_mfma_scale_f32_16x16x128_f8f6f4 a[244:247], v[164:167], v[124:127], a[244:247], v209, v206 op_sel_hi:[0,0,0] cbsz:4 blgp:4// 0000000046B0: D3AC1800 18039DD1 D3AD8CF4 87D2F9A4
	s_sub_u32 s22, s22, s63                                    // 0000000046C0: 80963F16
	v_mfma_scale_f32_16x16x128_f8f6f4 a[216:219], v[160:163], v[128:131], a[216:219], v209, v207 op_sel_hi:[0,0,0] cbsz:4 blgp:4// 0000000046C4: D3AC0000 18039FD1 D3AD8CD8 876301A0
	s_addk_i32 s50, 0x100                                      // 0000000046D4: B7320100
	v_mfma_scale_f32_16x16x128_f8f6f4 a[220:223], v[160:163], v[132:135], a[220:223], v209, v207 op_sel_hi:[0,0,0] cbsz:4 blgp:4// 0000000046D8: D3AC7000 18039FD1 D3AD8CDC 877309A0
	s_cmp_lt_i32 s50, s51                                      // 0000000046E8: BF043332
	v_mfma_scale_f32_16x16x128_f8f6f4 a[248:251], v[164:167], v[128:131], a[248:251], v209, v207 op_sel_hi:[0,0,0] cbsz:4 blgp:4// 0000000046EC: D3AC6800 18039FD1 D3AD8CF8 87E301A4
	v_mfma_scale_f32_16x16x128_f8f6f4 a[252:255], v[164:167], v[132:135], a[252:255], v209, v207 op_sel_hi:[0,0,0] cbsz:4 blgp:4// 0000000046FC: D3AC7800 18039FD1 D3AD8CFC 87F309A4
	s_cbranch_scc0 label_0EC7                                  // 00000000470C: BF840803
	s_waitcnt vmcnt(10) lgkmcnt(0)                             // 000000004710: BF8C007A
	v_mfma_scale_f32_16x16x128_f8f6f4 a[0:3], v[168:171], v[8:11], a[0:3], v210, v200 op_sel_hi:[0,0,0] cbsz:4 blgp:4// 000000004714: D3AC6000 000391D2 D3AD8C00 840211A8
	s_barrier                                                  // 000000004724: BF8A0000
	s_nop 0                                                    // 000000004728: BF800000
	s_nop 0                                                    // 00000000472C: BF800000
	v_mfma_scale_f32_16x16x128_f8f6f4 a[4:7], v[168:171], v[12:15], a[4:7], v210, v200 op_sel_hi:[0,0,0] cbsz:4 blgp:4// 000000004730: D3AC7000 000391D2 D3AD8C04 841219A8
	buffer_load_dwordx4 v[136:139], v225, s[16:19], 0 offen    // 000000004740: E05C1000 800488E1
	v_mfma_scale_f32_16x16x128_f8f6f4 a[32:35], v[172:175], v[8:11], a[32:35], v210, v200 op_sel_hi:[0,0,0] cbsz:4 blgp:4// 000000004748: D3AC6800 000391D2 D3AD8C20 848211AC
	ds_read_b128 v[72:75], v221 offset:16896                   // 000000004758: D9FE4200 480000DD
	v_mfma_scale_f32_16x16x128_f8f6f4 a[36:39], v[172:175], v[12:15], a[36:39], v210, v200 op_sel_hi:[0,0,0] cbsz:4 blgp:4// 000000004760: D3AC7800 000391D2 D3AD8C24 849219AC
	v_mfma_scale_f32_16x16x128_f8f6f4 a[8:11], v[168:171], v[16:19], a[8:11], v210, v201 op_sel_hi:[0,0,0] cbsz:4 blgp:4// 000000004770: D3AC6000 000393D2 D3AD8C08 842221A8
	v_mfma_scale_f32_16x16x128_f8f6f4 a[12:15], v[168:171], v[20:23], a[12:15], v210, v201 op_sel_hi:[0,0,0] cbsz:4 blgp:4// 000000004780: D3AC7000 000393D2 D3AD8C0C 843229A8
	buffer_load_dwordx4 v[140:143], v226, s[16:19], 0 offen    // 000000004790: E05C1000 80048CE2
	v_mfma_scale_f32_16x16x128_f8f6f4 a[40:43], v[172:175], v[16:19], a[40:43], v210, v201 op_sel_hi:[0,0,0] cbsz:4 blgp:4// 000000004798: D3AC6800 000393D2 D3AD8C28 84A221AC
	ds_read_b128 v[104:107], v221 offset:16960                 // 0000000047A8: D9FE4240 680000DD
	v_mfma_scale_f32_16x16x128_f8f6f4 a[44:47], v[172:175], v[20:23], a[44:47], v210, v201 op_sel_hi:[0,0,0] cbsz:4 blgp:4// 0000000047B0: D3AC7800 000393D2 D3AD8C2C 84B229AC
	v_mfma_scale_f32_16x16x128_f8f6f4 a[16:19], v[168:171], v[24:27], a[16:19], v210, v202 op_sel_hi:[0,0,0] cbsz:4 blgp:4// 0000000047C0: D3AC6000 000395D2 D3AD8C10 844231A8
	v_mfma_scale_f32_16x16x128_f8f6f4 a[20:23], v[168:171], v[28:31], a[20:23], v210, v202 op_sel_hi:[0,0,0] cbsz:4 blgp:4// 0000000047D0: D3AC7000 000395D2 D3AD8C14 845239A8
	buffer_load_dwordx4 v[144:147], v227, s[16:19], 0 offen    // 0000000047E0: E05C1000 800490E3
	v_mfma_scale_f32_16x16x128_f8f6f4 a[48:51], v[172:175], v[24:27], a[48:51], v210, v202 op_sel_hi:[0,0,0] cbsz:4 blgp:4// 0000000047E8: D3AC6800 000395D2 D3AD8C30 84C231AC
	ds_read_b128 v[76:79], v221 offset:17408                   // 0000000047F8: D9FE4400 4C0000DD
	v_mfma_scale_f32_16x16x128_f8f6f4 a[52:55], v[172:175], v[28:31], a[52:55], v210, v202 op_sel_hi:[0,0,0] cbsz:4 blgp:4// 000000004800: D3AC7800 000395D2 D3AD8C34 84D239AC
	v_mfma_scale_f32_16x16x128_f8f6f4 a[24:27], v[168:171], v[32:35], a[24:27], v210, v203 op_sel_hi:[0,0,0] cbsz:4 blgp:4// 000000004810: D3AC6000 000397D2 D3AD8C18 846241A8
	v_mfma_scale_f32_16x16x128_f8f6f4 a[28:31], v[168:171], v[36:39], a[28:31], v210, v203 op_sel_hi:[0,0,0] cbsz:4 blgp:4// 000000004820: D3AC7000 000397D2 D3AD8C1C 847249A8
	buffer_load_dwordx4 v[148:151], v228, s[16:19], 0 offen    // 000000004830: E05C1000 800494E4
	v_mfma_scale_f32_16x16x128_f8f6f4 a[56:59], v[172:175], v[32:35], a[56:59], v210, v203 op_sel_hi:[0,0,0] cbsz:4 blgp:4// 000000004838: D3AC6800 000397D2 D3AD8C38 84E241AC
	ds_read_b128 v[108:111], v221 offset:17472                 // 000000004848: D9FE4440 6C0000DD
	v_mfma_scale_f32_16x16x128_f8f6f4 a[60:63], v[172:175], v[36:39], a[60:63], v210, v203 op_sel_hi:[0,0,0] cbsz:4 blgp:4// 000000004850: D3AC7800 000397D2 D3AD8C3C 84F249AC
	v_mfma_scale_f32_16x16x128_f8f6f4 a[64:67], v[176:179], v[8:11], a[64:67], v211, v200 op_sel_hi:[0,0,0] cbsz:4 blgp:4// 000000004860: D3AC6000 000391D3 D3AD8C40 850211B0
	v_mfma_scale_f32_16x16x128_f8f6f4 a[68:71], v[176:179], v[12:15], a[68:71], v211, v200 op_sel_hi:[0,0,0] cbsz:4 blgp:4// 000000004870: D3AC7000 000391D3 D3AD8C44 851219B0
	buffer_load_dwordx4 v[152:155], v229, s[16:19], 0 offen    // 000000004880: E05C1000 800498E5
	v_mfma_scale_f32_16x16x128_f8f6f4 a[96:99], v[180:183], v[8:11], a[96:99], v211, v200 op_sel_hi:[0,0,0] cbsz:4 blgp:4// 000000004888: D3AC6800 000391D3 D3AD8C60 858211B4
	ds_read_b128 v[80:83], v221 offset:21120                   // 000000004898: D9FE5280 500000DD
	v_mfma_scale_f32_16x16x128_f8f6f4 a[100:103], v[180:183], v[12:15], a[100:103], v211, v200 op_sel_hi:[0,0,0] cbsz:4 blgp:4// 0000000048A0: D3AC7800 000391D3 D3AD8C64 859219B4
	v_mfma_scale_f32_16x16x128_f8f6f4 a[72:75], v[176:179], v[16:19], a[72:75], v211, v201 op_sel_hi:[0,0,0] cbsz:4 blgp:4// 0000000048B0: D3AC6000 000393D3 D3AD8C48 852221B0
	v_mfma_scale_f32_16x16x128_f8f6f4 a[76:79], v[176:179], v[20:23], a[76:79], v211, v201 op_sel_hi:[0,0,0] cbsz:4 blgp:4// 0000000048C0: D3AC7000 000393D3 D3AD8C4C 853229B0
	buffer_load_dwordx4 v[156:159], v230, s[16:19], 0 offen    // 0000000048D0: E05C1000 80049CE6
	v_mfma_scale_f32_16x16x128_f8f6f4 a[104:107], v[180:183], v[16:19], a[104:107], v211, v201 op_sel_hi:[0,0,0] cbsz:4 blgp:4// 0000000048D8: D3AC6800 000393D3 D3AD8C68 85A221B4
	ds_read_b128 v[112:115], v221 offset:21184                 // 0000000048E8: D9FE52C0 700000DD
	v_mfma_scale_f32_16x16x128_f8f6f4 a[108:111], v[180:183], v[20:23], a[108:111], v211, v201 op_sel_hi:[0,0,0] cbsz:4 blgp:4// 0000000048F0: D3AC7800 000393D3 D3AD8C6C 85B229B4
	v_mfma_scale_f32_16x16x128_f8f6f4 a[80:83], v[176:179], v[24:27], a[80:83], v211, v202 op_sel_hi:[0,0,0] cbsz:4 blgp:4// 000000004900: D3AC6000 000395D3 D3AD8C50 854231B0
	v_mfma_scale_f32_16x16x128_f8f6f4 a[84:87], v[176:179], v[28:31], a[84:87], v211, v202 op_sel_hi:[0,0,0] cbsz:4 blgp:4// 000000004910: D3AC7000 000395D3 D3AD8C54 855239B0
	buffer_load_dwordx4 v[160:163], v231, s[16:19], 0 offen    // 000000004920: E05C1000 8004A0E7
	v_mfma_scale_f32_16x16x128_f8f6f4 a[112:115], v[180:183], v[24:27], a[112:115], v211, v202 op_sel_hi:[0,0,0] cbsz:4 blgp:4// 000000004928: D3AC6800 000395D3 D3AD8C70 85C231B4
	ds_read_b128 v[84:87], v221 offset:21632                   // 000000004938: D9FE5480 540000DD
	v_mfma_scale_f32_16x16x128_f8f6f4 a[116:119], v[180:183], v[28:31], a[116:119], v211, v202 op_sel_hi:[0,0,0] cbsz:4 blgp:4// 000000004940: D3AC7800 000395D3 D3AD8C74 85D239B4
	v_mfma_scale_f32_16x16x128_f8f6f4 a[88:91], v[176:179], v[32:35], a[88:91], v211, v203 op_sel_hi:[0,0,0] cbsz:4 blgp:4// 000000004950: D3AC6000 000397D3 D3AD8C58 856241B0
	v_mfma_scale_f32_16x16x128_f8f6f4 a[92:95], v[176:179], v[36:39], a[92:95], v211, v203 op_sel_hi:[0,0,0] cbsz:4 blgp:4// 000000004960: D3AC7000 000397D3 D3AD8C5C 857249B0
	buffer_load_dwordx4 v[164:167], v232, s[16:19], 0 offen    // 000000004970: E05C1000 8004A4E8
	v_mfma_scale_f32_16x16x128_f8f6f4 a[120:123], v[180:183], v[32:35], a[120:123], v211, v203 op_sel_hi:[0,0,0] cbsz:4 blgp:4// 000000004978: D3AC6800 000397D3 D3AD8C78 85E241B4
	ds_read_b128 v[116:119], v221 offset:21696                 // 000000004988: D9FE54C0 740000DD
	v_mfma_scale_f32_16x16x128_f8f6f4 a[124:127], v[180:183], v[36:39], a[124:127], v211, v203 op_sel_hi:[0,0,0] cbsz:4 blgp:4// 000000004990: D3AC7800 000397D3 D3AD8C7C 85F249B4
	v_mfma_scale_f32_16x16x128_f8f6f4 a[0:3], v[184:187], v[40:43], a[0:3], v210, v200 op_sel_hi:[0,0,0] cbsz:4 blgp:4// 0000000049A0: D3AC6000 180391D2 D3AD8C00 840251B8
	v_mfma_scale_f32_16x16x128_f8f6f4 a[4:7], v[184:187], v[44:47], a[4:7], v210, v200 op_sel_hi:[0,0,0] cbsz:4 blgp:4// 0000000049B0: D3AC7000 180391D2 D3AD8C04 841259B8
	buffer_load_dword v208, v233, s[24:27], 0 offen            // 0000000049C0: E0501000 8006D0E9
	v_mfma_scale_f32_16x16x128_f8f6f4 a[32:35], v[188:191], v[40:43], a[32:35], v210, v200 op_sel_hi:[0,0,0] cbsz:4 blgp:4// 0000000049C8: D3AC6800 180391D2 D3AD8C20 848251BC
	ds_read_b128 v[88:91], v221 offset:25344                   // 0000000049D8: D9FE6300 580000DD
	v_mfma_scale_f32_16x16x128_f8f6f4 a[36:39], v[188:191], v[44:47], a[36:39], v210, v200 op_sel_hi:[0,0,0] cbsz:4 blgp:4// 0000000049E0: D3AC7800 180391D2 D3AD8C24 849259BC
	v_mfma_scale_f32_16x16x128_f8f6f4 a[8:11], v[184:187], v[48:51], a[8:11], v210, v201 op_sel_hi:[0,0,0] cbsz:4 blgp:4// 0000000049F0: D3AC6000 180393D2 D3AD8C08 842261B8
	v_mfma_scale_f32_16x16x128_f8f6f4 a[12:15], v[184:187], v[52:55], a[12:15], v210, v201 op_sel_hi:[0,0,0] cbsz:4 blgp:4// 000000004A00: D3AC7000 180393D2 D3AD8C0C 843269B8
	buffer_load_dword v209, v234, s[24:27], 0 offen            // 000000004A10: E0501000 8006D1EA
	v_mfma_scale_f32_16x16x128_f8f6f4 a[40:43], v[188:191], v[48:51], a[40:43], v210, v201 op_sel_hi:[0,0,0] cbsz:4 blgp:4// 000000004A18: D3AC6800 180393D2 D3AD8C28 84A261BC
	ds_read_b128 v[120:123], v221 offset:25408                 // 000000004A28: D9FE6340 780000DD
	v_mfma_scale_f32_16x16x128_f8f6f4 a[44:47], v[188:191], v[52:55], a[44:47], v210, v201 op_sel_hi:[0,0,0] cbsz:4 blgp:4// 000000004A30: D3AC7800 180393D2 D3AD8C2C 84B269BC
	v_mfma_scale_f32_16x16x128_f8f6f4 a[16:19], v[184:187], v[56:59], a[16:19], v210, v202 op_sel_hi:[0,0,0] cbsz:4 blgp:4// 000000004A40: D3AC6000 180395D2 D3AD8C10 844271B8
	s_add_u32 s53, 0x200, s50                                  // 000000004A50: 803532FF 00000200
	v_mfma_scale_f32_16x16x128_f8f6f4 a[20:23], v[184:187], v[60:63], a[20:23], v210, v202 op_sel_hi:[0,0,0] cbsz:4 blgp:4// 000000004A58: D3AC7000 180395D2 D3AD8C14 845279B8
	ds_read_b128 v[92:95], v221 offset:25856                   // 000000004A68: D9FE6500 5C0000DD
	v_mfma_scale_f32_16x16x128_f8f6f4 a[48:51], v[188:191], v[56:59], a[48:51], v210, v202 op_sel_hi:[0,0,0] cbsz:4 blgp:4// 000000004A70: D3AC6800 180395D2 D3AD8C30 84C271BC
	s_cmp_lt_u32 s53, s51                                      // 000000004A80: BF0A3335
	v_mfma_scale_f32_16x16x128_f8f6f4 a[52:55], v[188:191], v[60:63], a[52:55], v210, v202 op_sel_hi:[0,0,0] cbsz:4 blgp:4// 000000004A84: D3AC7800 180395D2 D3AD8C34 84D279BC
	ds_read_b128 v[124:127], v221 offset:25920                 // 000000004A94: D9FE6540 7C0000DD
	v_mfma_scale_f32_16x16x128_f8f6f4 a[24:27], v[184:187], v[64:67], a[24:27], v210, v203 op_sel_hi:[0,0,0] cbsz:4 blgp:4// 000000004A9C: D3AC6000 180397D2 D3AD8C18 846281B8
	s_cselect_b32 s62, s62, 0                                  // 000000004AAC: 853E803E
	v_mfma_scale_f32_16x16x128_f8f6f4 a[28:31], v[184:187], v[68:71], a[28:31], v210, v203 op_sel_hi:[0,0,0] cbsz:4 blgp:4// 000000004AB0: D3AC7000 180397D2 D3AD8C1C 847289B8
	ds_read_b128 v[96:99], v221 offset:29568                   // 000000004AC0: D9FE7380 600000DD
	v_mfma_scale_f32_16x16x128_f8f6f4 a[56:59], v[188:191], v[64:67], a[56:59], v210, v203 op_sel_hi:[0,0,0] cbsz:4 blgp:4// 000000004AC8: D3AC6800 180397D2 D3AD8C38 84E281BC
	s_cselect_b32 s64, s64, 0                                  // 000000004AD8: 85408040
	v_mfma_scale_f32_16x16x128_f8f6f4 a[60:63], v[188:191], v[68:71], a[60:63], v210, v203 op_sel_hi:[0,0,0] cbsz:4 blgp:4// 000000004ADC: D3AC7800 180397D2 D3AD8C3C 84F289BC
	ds_read_b128 v[128:131], v221 offset:29632                 // 000000004AEC: D9FE73C0 800000DD
	v_mfma_scale_f32_16x16x128_f8f6f4 a[64:67], v[192:195], v[40:43], a[64:67], v211, v200 op_sel_hi:[0,0,0] cbsz:4 blgp:4// 000000004AF4: D3AC6000 180391D3 D3AD8C40 850251C0
	s_add_u32 s16, s62, s16                                    // 000000004B04: 8010103E
	v_mfma_scale_f32_16x16x128_f8f6f4 a[68:71], v[192:195], v[44:47], a[68:71], v211, v200 op_sel_hi:[0,0,0] cbsz:4 blgp:4// 000000004B08: D3AC7000 180391D3 D3AD8C44 851259C0
	ds_read_b128 v[100:103], v221 offset:30080                 // 000000004B18: D9FE7580 640000DD
	v_mfma_scale_f32_16x16x128_f8f6f4 a[96:99], v[196:199], v[40:43], a[96:99], v211, v200 op_sel_hi:[0,0,0] cbsz:4 blgp:4// 000000004B20: D3AC6800 180391D3 D3AD8C60 858251C4
	s_addc_u32 s17, 0, s17                                     // 000000004B30: 82111180
	v_mfma_scale_f32_16x16x128_f8f6f4 a[100:103], v[196:199], v[44:47], a[100:103], v211, v200 op_sel_hi:[0,0,0] cbsz:4 blgp:4// 000000004B34: D3AC7800 180391D3 D3AD8C64 859259C4
	ds_read_b128 v[132:135], v221 offset:30144                 // 000000004B44: D9FE75C0 840000DD
	v_mfma_scale_f32_16x16x128_f8f6f4 a[72:75], v[192:195], v[48:51], a[72:75], v211, v201 op_sel_hi:[0,0,0] cbsz:4 blgp:4// 000000004B4C: D3AC6000 180393D3 D3AD8C48 852261C0
	s_sub_u32 s18, s18, s62                                    // 000000004B5C: 80923E12
	v_mfma_scale_f32_16x16x128_f8f6f4 a[76:79], v[192:195], v[52:55], a[76:79], v211, v201 op_sel_hi:[0,0,0] cbsz:4 blgp:4// 000000004B60: D3AC7000 180393D3 D3AD8C4C 853269C0
	ds_read_b32 v204, v224 offset:3072                         // 000000004B70: D86C0C00 CC0000E0
	v_mfma_scale_f32_16x16x128_f8f6f4 a[104:107], v[196:199], v[48:51], a[104:107], v211, v201 op_sel_hi:[0,0,0] cbsz:4 blgp:4// 000000004B78: D3AC6800 180393D3 D3AD8C68 85A261C4
	s_add_u32 s24, s64, s24                                    // 000000004B88: 80181840
	v_mfma_scale_f32_16x16x128_f8f6f4 a[108:111], v[196:199], v[52:55], a[108:111], v211, v201 op_sel_hi:[0,0,0] cbsz:4 blgp:4// 000000004B8C: D3AC7800 180393D3 D3AD8C6C 85B269C4
	ds_read_b32 v205, v224 offset:3328                         // 000000004B9C: D86C0D00 CD0000E0
	v_mfma_scale_f32_16x16x128_f8f6f4 a[80:83], v[192:195], v[56:59], a[80:83], v211, v202 op_sel_hi:[0,0,0] cbsz:4 blgp:4// 000000004BA4: D3AC6000 180395D3 D3AD8C50 854271C0
	s_addc_u32 s25, 0, s25                                     // 000000004BB4: 82191980
	v_mfma_scale_f32_16x16x128_f8f6f4 a[84:87], v[192:195], v[60:63], a[84:87], v211, v202 op_sel_hi:[0,0,0] cbsz:4 blgp:4// 000000004BB8: D3AC7000 180395D3 D3AD8C54 855279C0
	ds_read_b32 v206, v224 offset:3584                         // 000000004BC8: D86C0E00 CE0000E0
	v_mfma_scale_f32_16x16x128_f8f6f4 a[112:115], v[196:199], v[56:59], a[112:115], v211, v202 op_sel_hi:[0,0,0] cbsz:4 blgp:4// 000000004BD0: D3AC6800 180395D3 D3AD8C70 85C271C4
	s_sub_u32 s26, s26, s64                                    // 000000004BE0: 809A401A
	v_mfma_scale_f32_16x16x128_f8f6f4 a[116:119], v[196:199], v[60:63], a[116:119], v211, v202 op_sel_hi:[0,0,0] cbsz:4 blgp:4// 000000004BE4: D3AC7800 180395D3 D3AD8C74 85D279C4
	ds_read_b32 v207, v224 offset:3840                         // 000000004BF4: D86C0F00 CF0000E0
	v_mfma_scale_f32_16x16x128_f8f6f4 a[88:91], v[192:195], v[64:67], a[88:91], v211, v203 op_sel_hi:[0,0,0] cbsz:4 blgp:4// 000000004BFC: D3AC6000 180397D3 D3AD8C58 856281C0
	v_mfma_scale_f32_16x16x128_f8f6f4 a[92:95], v[192:195], v[68:71], a[92:95], v211, v203 op_sel_hi:[0,0,0] cbsz:4 blgp:4// 000000004C0C: D3AC1000 180397D3 D3AD8C5C 857289C0
	v_mfma_scale_f32_16x16x128_f8f6f4 a[120:123], v[196:199], v[64:67], a[120:123], v211, v203 op_sel_hi:[0,0,0] cbsz:4 blgp:4// 000000004C1C: D3AC0800 180397D3 D3AD8C78 85E281C4
	v_mfma_scale_f32_16x16x128_f8f6f4 a[124:127], v[196:199], v[68:71], a[124:127], v211, v203 op_sel_hi:[0,0,0] cbsz:4 blgp:4// 000000004C2C: D3AC7800 180397D3 D3AD8C7C 85F289C4
	s_waitcnt vmcnt(15) lgkmcnt(0)                             // 000000004C3C: BF8C007F
	v_mfma_scale_f32_16x16x128_f8f6f4 a[128:131], v[168:171], v[72:75], a[128:131], v210, v204 op_sel_hi:[0,0,0] cbsz:4 blgp:4// 000000004C40: D3AC6000 000399D2 D3AD8C80 860291A8
	s_barrier                                                  // 000000004C50: BF8A0000
	s_nop 0                                                    // 000000004C54: BF800000
	v_mfma_scale_f32_16x16x128_f8f6f4 a[132:135], v[168:171], v[76:79], a[132:135], v210, v204 op_sel_hi:[0,0,0] cbsz:4 blgp:4// 000000004C58: D3AC7000 000399D2 D3AD8C84 861299A8
	s_add_u32 m0, 0x8400, s59                                  // 000000004C68: 807C3BFF 00008400
	v_mfma_scale_f32_16x16x128_f8f6f4 a[160:163], v[172:175], v[72:75], a[160:163], v210, v204 op_sel_hi:[0,0,0] cbsz:4 blgp:4// 000000004C70: D3AC6800 000399D2 D3AD8CA0 868291AC
	ds_read_b128 v[8:11], v220                                 // 000000004C80: D9FE0000 080000DC
	v_mfma_scale_f32_16x16x128_f8f6f4 a[164:167], v[172:175], v[76:79], a[164:167], v210, v204 op_sel_hi:[0,0,0] cbsz:4 blgp:4// 000000004C88: D3AC7800 000399D2 D3AD8CA4 869299AC
	buffer_load_dwordx4 v212, s[12:15], 0 offen lds            // 000000004C98: E05D1000 800300D4
	v_mfma_scale_f32_16x16x128_f8f6f4 a[136:139], v[168:171], v[80:83], a[136:139], v210, v205 op_sel_hi:[0,0,0] cbsz:4 blgp:4// 000000004CA0: D3AC6000 00039BD2 D3AD8C88 8622A1A8
	ds_read_b128 v[40:43], v220 offset:64                      // 000000004CB0: D9FE0040 280000DC
	v_mfma_scale_f32_16x16x128_f8f6f4 a[140:143], v[168:171], v[84:87], a[140:143], v210, v205 op_sel_hi:[0,0,0] cbsz:4 blgp:4// 000000004CB8: D3AC7000 00039BD2 D3AD8C8C 8632A9A8
	s_add_u32 m0, 0x9480, s59                                  // 000000004CC8: 807C3BFF 00009480
	v_mfma_scale_f32_16x16x128_f8f6f4 a[168:171], v[172:175], v[80:83], a[168:171], v210, v205 op_sel_hi:[0,0,0] cbsz:4 blgp:4// 000000004CD0: D3AC6800 00039BD2 D3AD8CA8 86A2A1AC
	ds_read_b128 v[12:15], v220 offset:512                     // 000000004CE0: D9FE0200 0C0000DC
	v_mfma_scale_f32_16x16x128_f8f6f4 a[172:175], v[172:175], v[84:87], a[172:175], v210, v205 op_sel_hi:[0,0,0] cbsz:4 blgp:4// 000000004CE8: D3AC7800 00039BD2 D3AD8CAC 86B2A9AC
	buffer_load_dwordx4 v213, s[12:15], 0 offen lds            // 000000004CF8: E05D1000 800300D5
	v_mfma_scale_f32_16x16x128_f8f6f4 a[144:147], v[168:171], v[88:91], a[144:147], v210, v206 op_sel_hi:[0,0,0] cbsz:4 blgp:4// 000000004D00: D3AC6000 00039DD2 D3AD8C90 8642B1A8
	ds_read_b128 v[44:47], v220 offset:576                     // 000000004D10: D9FE0240 2C0000DC
	v_mfma_scale_f32_16x16x128_f8f6f4 a[148:151], v[168:171], v[92:95], a[148:151], v210, v206 op_sel_hi:[0,0,0] cbsz:4 blgp:4// 000000004D18: D3AC7000 00039DD2 D3AD8C94 8652B9A8
	s_add_u32 m0, 0xa500, s59                                  // 000000004D28: 807C3BFF 0000A500
	v_mfma_scale_f32_16x16x128_f8f6f4 a[176:179], v[172:175], v[88:91], a[176:179], v210, v206 op_sel_hi:[0,0,0] cbsz:4 blgp:4// 000000004D30: D3AC6800 00039DD2 D3AD8CB0 86C2B1AC
	ds_read_b128 v[16:19], v220 offset:4224                    // 000000004D40: D9FE1080 100000DC
	v_mfma_scale_f32_16x16x128_f8f6f4 a[180:183], v[172:175], v[92:95], a[180:183], v210, v206 op_sel_hi:[0,0,0] cbsz:4 blgp:4// 000000004D48: D3AC7800 00039DD2 D3AD8CB4 86D2B9AC
	buffer_load_dwordx4 v214, s[12:15], 0 offen lds            // 000000004D58: E05D1000 800300D6
	v_mfma_scale_f32_16x16x128_f8f6f4 a[152:155], v[168:171], v[96:99], a[152:155], v210, v207 op_sel_hi:[0,0,0] cbsz:4 blgp:4// 000000004D60: D3AC6000 00039FD2 D3AD8C98 8662C1A8
	ds_read_b128 v[48:51], v220 offset:4288                    // 000000004D70: D9FE10C0 300000DC
	v_mfma_scale_f32_16x16x128_f8f6f4 a[156:159], v[168:171], v[100:103], a[156:159], v210, v207 op_sel_hi:[0,0,0] cbsz:4 blgp:4// 000000004D78: D3AC7000 00039FD2 D3AD8C9C 8672C9A8
	s_add_u32 m0, 0xb580, s59                                  // 000000004D88: 807C3BFF 0000B580
	v_mfma_scale_f32_16x16x128_f8f6f4 a[184:187], v[172:175], v[96:99], a[184:187], v210, v207 op_sel_hi:[0,0,0] cbsz:4 blgp:4// 000000004D90: D3AC6800 00039FD2 D3AD8CB8 86E2C1AC
	ds_read_b128 v[20:23], v220 offset:4736                    // 000000004DA0: D9FE1280 140000DC
	v_mfma_scale_f32_16x16x128_f8f6f4 a[188:191], v[172:175], v[100:103], a[188:191], v210, v207 op_sel_hi:[0,0,0] cbsz:4 blgp:4// 000000004DA8: D3AC7800 00039FD2 D3AD8CBC 86F2C9AC
	buffer_load_dwordx4 v215, s[12:15], 0 offen lds            // 000000004DB8: E05D1000 800300D7
	v_mfma_scale_f32_16x16x128_f8f6f4 a[192:195], v[176:179], v[72:75], a[192:195], v211, v204 op_sel_hi:[0,0,0] cbsz:4 blgp:4// 000000004DC0: D3AC6000 000399D3 D3AD8CC0 870291B0
	ds_read_b128 v[52:55], v220 offset:4800                    // 000000004DD0: D9FE12C0 340000DC
	v_mfma_scale_f32_16x16x128_f8f6f4 a[196:199], v[176:179], v[76:79], a[196:199], v211, v204 op_sel_hi:[0,0,0] cbsz:4 blgp:4// 000000004DD8: D3AC7000 000399D3 D3AD8CC4 871299B0
	s_add_u32 m0, 0x800, s60                                   // 000000004DE8: 807C3CFF 00000800
	v_mfma_scale_f32_16x16x128_f8f6f4 a[224:227], v[180:183], v[72:75], a[224:227], v211, v204 op_sel_hi:[0,0,0] cbsz:4 blgp:4// 000000004DF0: D3AC6800 000399D3 D3AD8CE0 878291B4
	ds_read_b128 v[24:27], v220 offset:8448                    // 000000004E00: D9FE2100 180000DC
	v_mfma_scale_f32_16x16x128_f8f6f4 a[228:231], v[180:183], v[76:79], a[228:231], v211, v204 op_sel_hi:[0,0,0] cbsz:4 blgp:4// 000000004E08: D3AC7800 000399D3 D3AD8CE4 879299B4
	buffer_load_dword v222, s[20:23], 0 offen lds              // 000000004E18: E0511000 800500DE
	v_mfma_scale_f32_16x16x128_f8f6f4 a[200:203], v[176:179], v[80:83], a[200:203], v211, v205 op_sel_hi:[0,0,0] cbsz:4 blgp:4// 000000004E20: D3AC6000 00039BD3 D3AD8CC8 8722A1B0
	ds_read_b128 v[56:59], v220 offset:8512                    // 000000004E30: D9FE2140 380000DC
	v_mfma_scale_f32_16x16x128_f8f6f4 a[204:207], v[176:179], v[84:87], a[204:207], v211, v205 op_sel_hi:[0,0,0] cbsz:4 blgp:4// 000000004E38: D3AC7000 00039BD3 D3AD8CCC 8732A9B0
	s_add_u32 m0, 0xc600, s59                                  // 000000004E48: 807C3BFF 0000C600
	v_mfma_scale_f32_16x16x128_f8f6f4 a[232:235], v[180:183], v[80:83], a[232:235], v211, v205 op_sel_hi:[0,0,0] cbsz:4 blgp:4// 000000004E50: D3AC6800 00039BD3 D3AD8CE8 87A2A1B4
	ds_read_b128 v[28:31], v220 offset:8960                    // 000000004E60: D9FE2300 1C0000DC
	v_mfma_scale_f32_16x16x128_f8f6f4 a[236:239], v[180:183], v[84:87], a[236:239], v211, v205 op_sel_hi:[0,0,0] cbsz:4 blgp:4// 000000004E68: D3AC7800 00039BD3 D3AD8CEC 87B2A9B4
	buffer_load_dwordx4 v216, s[12:15], 0 offen lds            // 000000004E78: E05D1000 800300D8
	v_mfma_scale_f32_16x16x128_f8f6f4 a[208:211], v[176:179], v[88:91], a[208:211], v211, v206 op_sel_hi:[0,0,0] cbsz:4 blgp:4// 000000004E80: D3AC6000 00039DD3 D3AD8CD0 8742B1B0
	ds_read_b128 v[60:63], v220 offset:9024                    // 000000004E90: D9FE2340 3C0000DC
	v_mfma_scale_f32_16x16x128_f8f6f4 a[212:215], v[176:179], v[92:95], a[212:215], v211, v206 op_sel_hi:[0,0,0] cbsz:4 blgp:4// 000000004E98: D3AC7000 00039DD3 D3AD8CD4 8752B9B0
	s_add_u32 m0, 0xd680, s59                                  // 000000004EA8: 807C3BFF 0000D680
	v_mfma_scale_f32_16x16x128_f8f6f4 a[240:243], v[180:183], v[88:91], a[240:243], v211, v206 op_sel_hi:[0,0,0] cbsz:4 blgp:4// 000000004EB0: D3AC6800 00039DD3 D3AD8CF0 87C2B1B4
	ds_read_b128 v[32:35], v220 offset:12672                   // 000000004EC0: D9FE3180 200000DC
	v_mfma_scale_f32_16x16x128_f8f6f4 a[244:247], v[180:183], v[92:95], a[244:247], v211, v206 op_sel_hi:[0,0,0] cbsz:4 blgp:4// 000000004EC8: D3AC7800 00039DD3 D3AD8CF4 87D2B9B4
	buffer_load_dwordx4 v217, s[12:15], 0 offen lds            // 000000004ED8: E05D1000 800300D9
	v_mfma_scale_f32_16x16x128_f8f6f4 a[216:219], v[176:179], v[96:99], a[216:219], v211, v207 op_sel_hi:[0,0,0] cbsz:4 blgp:4// 000000004EE0: D3AC6000 00039FD3 D3AD8CD8 8762C1B0
	ds_read_b128 v[64:67], v220 offset:12736                   // 000000004EF0: D9FE31C0 400000DC
	v_mfma_scale_f32_16x16x128_f8f6f4 a[220:223], v[176:179], v[100:103], a[220:223], v211, v207 op_sel_hi:[0,0,0] cbsz:4 blgp:4// 000000004EF8: D3AC7000 00039FD3 D3AD8CDC 8772C9B0
	s_add_u32 m0, 0xe700, s59                                  // 000000004F08: 807C3BFF 0000E700
	v_mfma_scale_f32_16x16x128_f8f6f4 a[248:251], v[180:183], v[96:99], a[248:251], v211, v207 op_sel_hi:[0,0,0] cbsz:4 blgp:4// 000000004F10: D3AC6800 00039FD3 D3AD8CF8 87E2C1B4
	ds_read_b128 v[36:39], v220 offset:13184                   // 000000004F20: D9FE3380 240000DC
	v_mfma_scale_f32_16x16x128_f8f6f4 a[252:255], v[180:183], v[100:103], a[252:255], v211, v207 op_sel_hi:[0,0,0] cbsz:4 blgp:4// 000000004F28: D3AC7800 00039FD3 D3AD8CFC 87F2C9B4
	buffer_load_dwordx4 v218, s[12:15], 0 offen lds            // 000000004F38: E05D1000 800300DA
	v_mfma_scale_f32_16x16x128_f8f6f4 a[128:131], v[184:187], v[104:107], a[128:131], v210, v204 op_sel_hi:[0,0,0] cbsz:4 blgp:4// 000000004F40: D3AC6000 180399D2 D3AD8C80 8602D1B8
	ds_read_b128 v[68:71], v220 offset:13248                   // 000000004F50: D9FE33C0 440000DC
	v_mfma_scale_f32_16x16x128_f8f6f4 a[132:135], v[184:187], v[108:111], a[132:135], v210, v204 op_sel_hi:[0,0,0] cbsz:4 blgp:4// 000000004F58: D3AC7000 180399D2 D3AD8C84 8612D9B8
	s_add_u32 m0, 0xf780, s59                                  // 000000004F68: 807C3BFF 0000F780
	v_mfma_scale_f32_16x16x128_f8f6f4 a[160:163], v[188:191], v[104:107], a[160:163], v210, v204 op_sel_hi:[0,0,0] cbsz:4 blgp:4// 000000004F70: D3AC6800 180399D2 D3AD8CA0 8682D1BC
	ds_read_b32 v200, v224                                     // 000000004F80: D86C0000 C80000E0
	v_mfma_scale_f32_16x16x128_f8f6f4 a[164:167], v[188:191], v[108:111], a[164:167], v210, v204 op_sel_hi:[0,0,0] cbsz:4 blgp:4// 000000004F88: D3AC7800 180399D2 D3AD8CA4 8692D9BC
	buffer_load_dwordx4 v219, s[12:15], 0 offen lds            // 000000004F98: E05D1000 800300DB
	v_mfma_scale_f32_16x16x128_f8f6f4 a[136:139], v[184:187], v[112:115], a[136:139], v210, v205 op_sel_hi:[0,0,0] cbsz:4 blgp:4// 000000004FA0: D3AC6000 18039BD2 D3AD8C88 8622E1B8
	ds_read_b32 v201, v224 offset:256                          // 000000004FB0: D86C0100 C90000E0
	v_mfma_scale_f32_16x16x128_f8f6f4 a[140:143], v[184:187], v[116:119], a[140:143], v210, v205 op_sel_hi:[0,0,0] cbsz:4 blgp:4// 000000004FB8: D3AC7000 18039BD2 D3AD8C8C 8632E9B8
	s_add_u32 m0, 0xc00, s60                                   // 000000004FC8: 807C3CFF 00000C00
	v_mfma_scale_f32_16x16x128_f8f6f4 a[168:171], v[188:191], v[112:115], a[168:171], v210, v205 op_sel_hi:[0,0,0] cbsz:4 blgp:4// 000000004FD0: D3AC6800 18039BD2 D3AD8CA8 86A2E1BC
	ds_read_b32 v202, v224 offset:512                          // 000000004FE0: D86C0200 CA0000E0
	v_mfma_scale_f32_16x16x128_f8f6f4 a[172:175], v[188:191], v[116:119], a[172:175], v210, v205 op_sel_hi:[0,0,0] cbsz:4 blgp:4// 000000004FE8: D3AC7800 18039BD2 D3AD8CAC 86B2E9BC
	buffer_load_dword v223, s[20:23], 0 offen lds              // 000000004FF8: E0511000 800500DF
	v_mfma_scale_f32_16x16x128_f8f6f4 a[144:147], v[184:187], v[120:123], a[144:147], v210, v206 op_sel_hi:[0,0,0] cbsz:4 blgp:4// 000000005000: D3AC6000 18039DD2 D3AD8C90 8642F1B8
	ds_read_b32 v203, v224 offset:768                          // 000000005010: D86C0300 CB0000E0
	v_mfma_scale_f32_16x16x128_f8f6f4 a[148:151], v[184:187], v[124:127], a[148:151], v210, v206 op_sel_hi:[0,0,0] cbsz:4 blgp:4// 000000005018: D3AC7000 18039DD2 D3AD8C94 8652F9B8
	s_add_u32 s52, 0x300, s50                                  // 000000005028: 803432FF 00000300
	v_mfma_scale_f32_16x16x128_f8f6f4 a[176:179], v[188:191], v[120:123], a[176:179], v210, v206 op_sel_hi:[0,0,0] cbsz:4 blgp:4// 000000005030: D3AC6800 18039DD2 D3AD8CB0 86C2F1BC
	v_mfma_scale_f32_16x16x128_f8f6f4 a[180:183], v[188:191], v[124:127], a[180:183], v210, v206 op_sel_hi:[0,0,0] cbsz:4 blgp:4// 000000005040: D3AC7800 18039DD2 D3AD8CB4 86D2F9BC
	s_cmp_lt_u32 s52, s51                                      // 000000005050: BF0A3334
	v_mfma_scale_f32_16x16x128_f8f6f4 a[152:155], v[184:187], v[128:131], a[152:155], v210, v207 op_sel_hi:[0,0,0] cbsz:4 blgp:4// 000000005054: D3AC6000 18039FD2 D3AD8C98 866301B8
	v_mfma_scale_f32_16x16x128_f8f6f4 a[156:159], v[184:187], v[132:135], a[156:159], v210, v207 op_sel_hi:[0,0,0] cbsz:4 blgp:4// 000000005064: D3AC7000 18039FD2 D3AD8C9C 867309B8
	s_cselect_b32 s61, s61, 0                                  // 000000005074: 853D803D
	v_mfma_scale_f32_16x16x128_f8f6f4 a[184:187], v[188:191], v[128:131], a[184:187], v210, v207 op_sel_hi:[0,0,0] cbsz:4 blgp:4// 000000005078: D3AC6800 18039FD2 D3AD8CB8 86E301BC
	v_mfma_scale_f32_16x16x128_f8f6f4 a[188:191], v[188:191], v[132:135], a[188:191], v210, v207 op_sel_hi:[0,0,0] cbsz:4 blgp:4// 000000005088: D3AC7800 18039FD2 D3AD8CBC 86F309BC
	s_cselect_b32 s63, s63, 0                                  // 000000005098: 853F803F
	v_mfma_scale_f32_16x16x128_f8f6f4 a[192:195], v[192:195], v[104:107], a[192:195], v211, v204 op_sel_hi:[0,0,0] cbsz:4 blgp:4// 00000000509C: D3AC6000 180399D3 D3AD8CC0 8702D1C0
	v_mfma_scale_f32_16x16x128_f8f6f4 a[196:199], v[192:195], v[108:111], a[196:199], v211, v204 op_sel_hi:[0,0,0] cbsz:4 blgp:4// 0000000050AC: D3AC7000 180399D3 D3AD8CC4 8712D9C0
	s_add_u32 s12, s61, s12                                    // 0000000050BC: 800C0C3D
	v_mfma_scale_f32_16x16x128_f8f6f4 a[224:227], v[196:199], v[104:107], a[224:227], v211, v204 op_sel_hi:[0,0,0] cbsz:4 blgp:4// 0000000050C0: D3AC6800 180399D3 D3AD8CE0 8782D1C4
	v_mfma_scale_f32_16x16x128_f8f6f4 a[228:231], v[196:199], v[108:111], a[228:231], v211, v204 op_sel_hi:[0,0,0] cbsz:4 blgp:4// 0000000050D0: D3AC7800 180399D3 D3AD8CE4 8792D9C4
	s_addc_u32 s13, 0, s13                                     // 0000000050E0: 820D0D80
	v_mfma_scale_f32_16x16x128_f8f6f4 a[200:203], v[192:195], v[112:115], a[200:203], v211, v205 op_sel_hi:[0,0,0] cbsz:4 blgp:4// 0000000050E4: D3AC6000 18039BD3 D3AD8CC8 8722E1C0
	v_mfma_scale_f32_16x16x128_f8f6f4 a[204:207], v[192:195], v[116:119], a[204:207], v211, v205 op_sel_hi:[0,0,0] cbsz:4 blgp:4// 0000000050F4: D3AC7000 18039BD3 D3AD8CCC 8732E9C0
	s_sub_u32 s14, s14, s61                                    // 000000005104: 808E3D0E
	v_mfma_scale_f32_16x16x128_f8f6f4 a[232:235], v[196:199], v[112:115], a[232:235], v211, v205 op_sel_hi:[0,0,0] cbsz:4 blgp:4// 000000005108: D3AC6800 18039BD3 D3AD8CE8 87A2E1C4
	v_mfma_scale_f32_16x16x128_f8f6f4 a[236:239], v[196:199], v[116:119], a[236:239], v211, v205 op_sel_hi:[0,0,0] cbsz:4 blgp:4// 000000005118: D3AC7800 18039BD3 D3AD8CEC 87B2E9C4
	s_add_u32 s20, s63, s20                                    // 000000005128: 8014143F
	v_mfma_scale_f32_16x16x128_f8f6f4 a[208:211], v[192:195], v[120:123], a[208:211], v211, v206 op_sel_hi:[0,0,0] cbsz:4 blgp:4// 00000000512C: D3AC6000 18039DD3 D3AD8CD0 8742F1C0
	v_mfma_scale_f32_16x16x128_f8f6f4 a[212:215], v[192:195], v[124:127], a[212:215], v211, v206 op_sel_hi:[0,0,0] cbsz:4 blgp:4// 00000000513C: D3AC7000 18039DD3 D3AD8CD4 8752F9C0
	s_addc_u32 s21, 0, s21                                     // 00000000514C: 82151580
	v_mfma_scale_f32_16x16x128_f8f6f4 a[240:243], v[196:199], v[120:123], a[240:243], v211, v206 op_sel_hi:[0,0,0] cbsz:4 blgp:4// 000000005150: D3AC6800 18039DD3 D3AD8CF0 87C2F1C4
	v_mfma_scale_f32_16x16x128_f8f6f4 a[244:247], v[196:199], v[124:127], a[244:247], v211, v206 op_sel_hi:[0,0,0] cbsz:4 blgp:4// 000000005160: D3AC7800 18039DD3 D3AD8CF4 87D2F9C4
	s_sub_u32 s22, s22, s63                                    // 000000005170: 80963F16
	v_mfma_scale_f32_16x16x128_f8f6f4 a[216:219], v[192:195], v[128:131], a[216:219], v211, v207 op_sel_hi:[0,0,0] cbsz:4 blgp:4// 000000005174: D3AC6000 18039FD3 D3AD8CD8 876301C0
	s_addk_i32 s50, 0x100                                      // 000000005184: B7320100
	v_mfma_scale_f32_16x16x128_f8f6f4 a[220:223], v[192:195], v[132:135], a[220:223], v211, v207 op_sel_hi:[0,0,0] cbsz:4 blgp:4// 000000005188: D3AC7000 18039FD3 D3AD8CDC 877309C0
	s_cmp_lt_i32 s50, s51                                      // 000000005198: BF043332
	v_mfma_scale_f32_16x16x128_f8f6f4 a[248:251], v[196:199], v[128:131], a[248:251], v211, v207 op_sel_hi:[0,0,0] cbsz:4 blgp:4// 00000000519C: D3AC6800 18039FD3 D3AD8CF8 87E301C4
	v_mfma_scale_f32_16x16x128_f8f6f4 a[252:255], v[196:199], v[132:135], a[252:255], v211, v207 op_sel_hi:[0,0,0] cbsz:4 blgp:4// 0000000051AC: D3AC7800 18039FD3 D3AD8CFC 87F309C4
	s_cbranch_scc0 label_0EC7                                  // 0000000051BC: BF840557
	s_branch label_041A                                        // 0000000051C0: BF82FAA9

00000000000051c4 <label_0971>:
	s_nop 0                                                    // 0000000051C4: BF800000

00000000000051c8 <label_0972>:
	s_waitcnt vmcnt(10) lgkmcnt(0)                             // 0000000051C8: BF8C007A
	v_mfma_scale_f32_16x16x128_f8f6f4 a[0:3], v[136:139], v[8:11], a[0:3], v208, v200 op_sel_hi:[0,0,0] cbsz:4 blgp:4// 0000000051CC: D3AC6000 000391D0 D3AD8C00 84021188
	s_barrier                                                  // 0000000051DC: BF8A0000
	s_nop 0                                                    // 0000000051E0: BF800000
	s_nop 0                                                    // 0000000051E4: BF800000
	v_mfma_scale_f32_16x16x128_f8f6f4 a[4:7], v[136:139], v[12:15], a[4:7], v208, v200 op_sel_hi:[0,0,0] cbsz:4 blgp:4// 0000000051E8: D3AC7000 000391D0 D3AD8C04 84121988
	ds_read_b128 v[72:75], v220 offset:16896                   // 0000000051F8: D9FE4200 480000DC
	v_mfma_scale_f32_16x16x128_f8f6f4 a[32:35], v[140:143], v[8:11], a[32:35], v208, v200 op_sel_hi:[0,0,0] cbsz:4 blgp:4// 000000005200: D3AC6800 000391D0 D3AD8C20 8482118C
	buffer_load_dwordx4 v[168:171], v225, s[16:19], 0 offen    // 000000005210: E05C1000 8004A8E1
	v_mfma_scale_f32_16x16x128_f8f6f4 a[36:39], v[140:143], v[12:15], a[36:39], v208, v200 op_sel_hi:[0,0,0] cbsz:4 blgp:4// 000000005218: D3AC7800 000391D0 D3AD8C24 8492198C
	v_mfma_scale_f32_16x16x128_f8f6f4 a[8:11], v[136:139], v[16:19], a[8:11], v208, v201 op_sel_hi:[0,0,0] cbsz:4 blgp:4// 000000005228: D3AC6000 000393D0 D3AD8C08 84222188
	v_mfma_scale_f32_16x16x128_f8f6f4 a[12:15], v[136:139], v[20:23], a[12:15], v208, v201 op_sel_hi:[0,0,0] cbsz:4 blgp:4// 000000005238: D3AC7000 000393D0 D3AD8C0C 84322988
	ds_read_b128 v[104:107], v220 offset:16960                 // 000000005248: D9FE4240 680000DC
	v_mfma_scale_f32_16x16x128_f8f6f4 a[40:43], v[140:143], v[16:19], a[40:43], v208, v201 op_sel_hi:[0,0,0] cbsz:4 blgp:4// 000000005250: D3AC6800 000393D0 D3AD8C28 84A2218C
	buffer_load_dwordx4 v[172:175], v226, s[16:19], 0 offen    // 000000005260: E05C1000 8004ACE2
	v_mfma_scale_f32_16x16x128_f8f6f4 a[44:47], v[140:143], v[20:23], a[44:47], v208, v201 op_sel_hi:[0,0,0] cbsz:4 blgp:4// 000000005268: D3AC7800 000393D0 D3AD8C2C 84B2298C
	v_mfma_scale_f32_16x16x128_f8f6f4 a[16:19], v[136:139], v[24:27], a[16:19], v208, v202 op_sel_hi:[0,0,0] cbsz:4 blgp:4// 000000005278: D3AC6000 000395D0 D3AD8C10 84423188
	v_mfma_scale_f32_16x16x128_f8f6f4 a[20:23], v[136:139], v[28:31], a[20:23], v208, v202 op_sel_hi:[0,0,0] cbsz:4 blgp:4// 000000005288: D3AC7000 000395D0 D3AD8C14 84523988
	ds_read_b128 v[76:79], v220 offset:17408                   // 000000005298: D9FE4400 4C0000DC
	v_mfma_scale_f32_16x16x128_f8f6f4 a[48:51], v[140:143], v[24:27], a[48:51], v208, v202 op_sel_hi:[0,0,0] cbsz:4 blgp:4// 0000000052A0: D3AC6800 000395D0 D3AD8C30 84C2318C
	buffer_load_dwordx4 v[176:179], v227, s[16:19], 0 offen    // 0000000052B0: E05C1000 8004B0E3
	v_mfma_scale_f32_16x16x128_f8f6f4 a[52:55], v[140:143], v[28:31], a[52:55], v208, v202 op_sel_hi:[0,0,0] cbsz:4 blgp:4// 0000000052B8: D3AC7800 000395D0 D3AD8C34 84D2398C
	v_mfma_scale_f32_16x16x128_f8f6f4 a[24:27], v[136:139], v[32:35], a[24:27], v208, v203 op_sel_hi:[0,0,0] cbsz:4 blgp:4// 0000000052C8: D3AC6000 000397D0 D3AD8C18 84624188
	v_mfma_scale_f32_16x16x128_f8f6f4 a[28:31], v[136:139], v[36:39], a[28:31], v208, v203 op_sel_hi:[0,0,0] cbsz:4 blgp:4// 0000000052D8: D3AC7000 000397D0 D3AD8C1C 84724988
	ds_read_b128 v[108:111], v220 offset:17472                 // 0000000052E8: D9FE4440 6C0000DC
	v_mfma_scale_f32_16x16x128_f8f6f4 a[56:59], v[140:143], v[32:35], a[56:59], v208, v203 op_sel_hi:[0,0,0] cbsz:4 blgp:4// 0000000052F0: D3AC6800 000397D0 D3AD8C38 84E2418C
	buffer_load_dwordx4 v[180:183], v228, s[16:19], 0 offen    // 000000005300: E05C1000 8004B4E4
	v_mfma_scale_f32_16x16x128_f8f6f4 a[60:63], v[140:143], v[36:39], a[60:63], v208, v203 op_sel_hi:[0,0,0] cbsz:4 blgp:4// 000000005308: D3AC7800 000397D0 D3AD8C3C 84F2498C
	v_mfma_scale_f32_16x16x128_f8f6f4 a[64:67], v[144:147], v[8:11], a[64:67], v209, v200 op_sel_hi:[0,0,0] cbsz:4 blgp:4// 000000005318: D3AC6000 000391D1 D3AD8C40 85021190
	v_mfma_scale_f32_16x16x128_f8f6f4 a[68:71], v[144:147], v[12:15], a[68:71], v209, v200 op_sel_hi:[0,0,0] cbsz:4 blgp:4// 000000005328: D3AC7000 000391D1 D3AD8C44 85121990
	ds_read_b128 v[80:83], v220 offset:21120                   // 000000005338: D9FE5280 500000DC
	v_mfma_scale_f32_16x16x128_f8f6f4 a[96:99], v[148:151], v[8:11], a[96:99], v209, v200 op_sel_hi:[0,0,0] cbsz:4 blgp:4// 000000005340: D3AC6800 000391D1 D3AD8C60 85821194
	buffer_load_dwordx4 v[184:187], v229, s[16:19], 0 offen    // 000000005350: E05C1000 8004B8E5
	v_mfma_scale_f32_16x16x128_f8f6f4 a[100:103], v[148:151], v[12:15], a[100:103], v209, v200 op_sel_hi:[0,0,0] cbsz:4 blgp:4// 000000005358: D3AC7800 000391D1 D3AD8C64 85921994
	v_mfma_scale_f32_16x16x128_f8f6f4 a[72:75], v[144:147], v[16:19], a[72:75], v209, v201 op_sel_hi:[0,0,0] cbsz:4 blgp:4// 000000005368: D3AC6000 000393D1 D3AD8C48 85222190
	v_mfma_scale_f32_16x16x128_f8f6f4 a[76:79], v[144:147], v[20:23], a[76:79], v209, v201 op_sel_hi:[0,0,0] cbsz:4 blgp:4// 000000005378: D3AC7000 000393D1 D3AD8C4C 85322990
	ds_read_b128 v[112:115], v220 offset:21184                 // 000000005388: D9FE52C0 700000DC
	v_mfma_scale_f32_16x16x128_f8f6f4 a[104:107], v[148:151], v[16:19], a[104:107], v209, v201 op_sel_hi:[0,0,0] cbsz:4 blgp:4// 000000005390: D3AC6800 000393D1 D3AD8C68 85A22194
	buffer_load_dwordx4 v[188:191], v230, s[16:19], 0 offen    // 0000000053A0: E05C1000 8004BCE6
	v_mfma_scale_f32_16x16x128_f8f6f4 a[108:111], v[148:151], v[20:23], a[108:111], v209, v201 op_sel_hi:[0,0,0] cbsz:4 blgp:4// 0000000053A8: D3AC7800 000393D1 D3AD8C6C 85B22994
	v_mfma_scale_f32_16x16x128_f8f6f4 a[80:83], v[144:147], v[24:27], a[80:83], v209, v202 op_sel_hi:[0,0,0] cbsz:4 blgp:4// 0000000053B8: D3AC6000 000395D1 D3AD8C50 85423190
	v_mfma_scale_f32_16x16x128_f8f6f4 a[84:87], v[144:147], v[28:31], a[84:87], v209, v202 op_sel_hi:[0,0,0] cbsz:4 blgp:4// 0000000053C8: D3AC7000 000395D1 D3AD8C54 85523990
	ds_read_b128 v[84:87], v220 offset:21632                   // 0000000053D8: D9FE5480 540000DC
	v_mfma_scale_f32_16x16x128_f8f6f4 a[112:115], v[148:151], v[24:27], a[112:115], v209, v202 op_sel_hi:[0,0,0] cbsz:4 blgp:4// 0000000053E0: D3AC6800 000395D1 D3AD8C70 85C23194
	buffer_load_dwordx4 v[192:195], v231, s[16:19], 0 offen    // 0000000053F0: E05C1000 8004C0E7
	v_mfma_scale_f32_16x16x128_f8f6f4 a[116:119], v[148:151], v[28:31], a[116:119], v209, v202 op_sel_hi:[0,0,0] cbsz:4 blgp:4// 0000000053F8: D3AC7800 000395D1 D3AD8C74 85D23994
	v_mfma_scale_f32_16x16x128_f8f6f4 a[88:91], v[144:147], v[32:35], a[88:91], v209, v203 op_sel_hi:[0,0,0] cbsz:4 blgp:4// 000000005408: D3AC6000 000397D1 D3AD8C58 85624190
	v_mfma_scale_f32_16x16x128_f8f6f4 a[92:95], v[144:147], v[36:39], a[92:95], v209, v203 op_sel_hi:[0,0,0] cbsz:4 blgp:4// 000000005418: D3AC7000 000397D1 D3AD8C5C 85724990
	ds_read_b128 v[116:119], v220 offset:21696                 // 000000005428: D9FE54C0 740000DC
	v_mfma_scale_f32_16x16x128_f8f6f4 a[120:123], v[148:151], v[32:35], a[120:123], v209, v203 op_sel_hi:[0,0,0] cbsz:4 blgp:4// 000000005430: D3AC6800 000397D1 D3AD8C78 85E24194
	buffer_load_dwordx4 v[196:199], v232, s[16:19], 0 offen    // 000000005440: E05C1000 8004C4E8
	v_mfma_scale_f32_16x16x128_f8f6f4 a[124:127], v[148:151], v[36:39], a[124:127], v209, v203 op_sel_hi:[0,0,0] cbsz:4 blgp:4// 000000005448: D3AC7800 000397D1 D3AD8C7C 85F24994
	v_mfma_scale_f32_16x16x128_f8f6f4 a[0:3], v[152:155], v[40:43], a[0:3], v208, v200 op_sel_hi:[0,0,0] cbsz:4 blgp:4// 000000005458: D3AC6000 180391D0 D3AD8C00 84025198
	v_mfma_scale_f32_16x16x128_f8f6f4 a[4:7], v[152:155], v[44:47], a[4:7], v208, v200 op_sel_hi:[0,0,0] cbsz:4 blgp:4// 000000005468: D3AC7000 180391D0 D3AD8C04 84125998
	ds_read_b128 v[88:91], v220 offset:25344                   // 000000005478: D9FE6300 580000DC
	v_mfma_scale_f32_16x16x128_f8f6f4 a[32:35], v[156:159], v[40:43], a[32:35], v208, v200 op_sel_hi:[0,0,0] cbsz:4 blgp:4// 000000005480: D3AC6800 180391D0 D3AD8C20 8482519C
	buffer_load_dword v210, v233, s[24:27], 0 offen            // 000000005490: E0501000 8006D2E9
	v_mfma_scale_f32_16x16x128_f8f6f4 a[36:39], v[156:159], v[44:47], a[36:39], v208, v200 op_sel_hi:[0,0,0] cbsz:4 blgp:4// 000000005498: D3AC7800 180391D0 D3AD8C24 8492599C
	v_mfma_scale_f32_16x16x128_f8f6f4 a[8:11], v[152:155], v[48:51], a[8:11], v208, v201 op_sel_hi:[0,0,0] cbsz:4 blgp:4// 0000000054A8: D3AC6000 180393D0 D3AD8C08 84226198
	v_mfma_scale_f32_16x16x128_f8f6f4 a[12:15], v[152:155], v[52:55], a[12:15], v208, v201 op_sel_hi:[0,0,0] cbsz:4 blgp:4// 0000000054B8: D3AC7000 180393D0 D3AD8C0C 84326998
	ds_read_b128 v[120:123], v220 offset:25408                 // 0000000054C8: D9FE6340 780000DC
	v_mfma_scale_f32_16x16x128_f8f6f4 a[40:43], v[156:159], v[48:51], a[40:43], v208, v201 op_sel_hi:[0,0,0] cbsz:4 blgp:4// 0000000054D0: D3AC6800 180393D0 D3AD8C28 84A2619C
	buffer_load_dword v211, v234, s[24:27], 0 offen            // 0000000054E0: E0501000 8006D3EA
	v_mfma_scale_f32_16x16x128_f8f6f4 a[44:47], v[156:159], v[52:55], a[44:47], v208, v201 op_sel_hi:[0,0,0] cbsz:4 blgp:4// 0000000054E8: D3AC7800 180393D0 D3AD8C2C 84B2699C
	v_mfma_scale_f32_16x16x128_f8f6f4 a[16:19], v[152:155], v[56:59], a[16:19], v208, v202 op_sel_hi:[0,0,0] cbsz:4 blgp:4// 0000000054F8: D3AC6000 180395D0 D3AD8C10 84427198
	ds_read_b128 v[92:95], v220 offset:25856                   // 000000005508: D9FE6500 5C0000DC
	v_mfma_scale_f32_16x16x128_f8f6f4 a[20:23], v[152:155], v[60:63], a[20:23], v208, v202 op_sel_hi:[0,0,0] cbsz:4 blgp:4// 000000005510: D3AC7000 180395D0 D3AD8C14 84527998
	s_add_u32 s53, 0x200, s50                                  // 000000005520: 803532FF 00000200
	v_mfma_scale_f32_16x16x128_f8f6f4 a[48:51], v[156:159], v[56:59], a[48:51], v208, v202 op_sel_hi:[0,0,0] cbsz:4 blgp:4// 000000005528: D3AC6800 180395D0 D3AD8C30 84C2719C
	ds_read_b128 v[124:127], v220 offset:25920                 // 000000005538: D9FE6540 7C0000DC
	v_mfma_scale_f32_16x16x128_f8f6f4 a[52:55], v[156:159], v[60:63], a[52:55], v208, v202 op_sel_hi:[0,0,0] cbsz:4 blgp:4// 000000005540: D3AC7800 180395D0 D3AD8C34 84D2799C
	s_cmp_lt_u32 s53, s51                                      // 000000005550: BF0A3335
	v_mfma_scale_f32_16x16x128_f8f6f4 a[24:27], v[152:155], v[64:67], a[24:27], v208, v203 op_sel_hi:[0,0,0] cbsz:4 blgp:4// 000000005554: D3AC6000 180397D0 D3AD8C18 84628198
	ds_read_b128 v[96:99], v220 offset:29568                   // 000000005564: D9FE7380 600000DC
	v_mfma_scale_f32_16x16x128_f8f6f4 a[28:31], v[152:155], v[68:71], a[28:31], v208, v203 op_sel_hi:[0,0,0] cbsz:4 blgp:4// 00000000556C: D3AC7000 180397D0 D3AD8C1C 84728998
	s_cselect_b32 s62, s62, 0                                  // 00000000557C: 853E803E
	v_mfma_scale_f32_16x16x128_f8f6f4 a[56:59], v[156:159], v[64:67], a[56:59], v208, v203 op_sel_hi:[0,0,0] cbsz:4 blgp:4// 000000005580: D3AC6800 180397D0 D3AD8C38 84E2819C
	ds_read_b128 v[128:131], v220 offset:29632                 // 000000005590: D9FE73C0 800000DC
	v_mfma_scale_f32_16x16x128_f8f6f4 a[60:63], v[156:159], v[68:71], a[60:63], v208, v203 op_sel_hi:[0,0,0] cbsz:4 blgp:4// 000000005598: D3AC7800 180397D0 D3AD8C3C 84F2899C
	s_cselect_b32 s64, s64, 0                                  // 0000000055A8: 85408040
	v_mfma_scale_f32_16x16x128_f8f6f4 a[64:67], v[160:163], v[40:43], a[64:67], v209, v200 op_sel_hi:[0,0,0] cbsz:4 blgp:4// 0000000055AC: D3AC6000 180391D1 D3AD8C40 850251A0
	ds_read_b128 v[100:103], v220 offset:30080                 // 0000000055BC: D9FE7580 640000DC
	v_mfma_scale_f32_16x16x128_f8f6f4 a[68:71], v[160:163], v[44:47], a[68:71], v209, v200 op_sel_hi:[0,0,0] cbsz:4 blgp:4// 0000000055C4: D3AC7000 180391D1 D3AD8C44 851259A0
	s_add_u32 s16, s62, s16                                    // 0000000055D4: 8010103E
	v_mfma_scale_f32_16x16x128_f8f6f4 a[96:99], v[164:167], v[40:43], a[96:99], v209, v200 op_sel_hi:[0,0,0] cbsz:4 blgp:4// 0000000055D8: D3AC6800 180391D1 D3AD8C60 858251A4
	ds_read_b128 v[132:135], v220 offset:30144                 // 0000000055E8: D9FE75C0 840000DC
	v_mfma_scale_f32_16x16x128_f8f6f4 a[100:103], v[164:167], v[44:47], a[100:103], v209, v200 op_sel_hi:[0,0,0] cbsz:4 blgp:4// 0000000055F0: D3AC7800 180391D1 D3AD8C64 859259A4
	s_addc_u32 s17, 0, s17                                     // 000000005600: 82111180
	v_mfma_scale_f32_16x16x128_f8f6f4 a[72:75], v[160:163], v[48:51], a[72:75], v209, v201 op_sel_hi:[0,0,0] cbsz:4 blgp:4// 000000005604: D3AC6000 180393D1 D3AD8C48 852261A0
	ds_read_b32 v204, v224 offset:1024                         // 000000005614: D86C0400 CC0000E0
	v_mfma_scale_f32_16x16x128_f8f6f4 a[76:79], v[160:163], v[52:55], a[76:79], v209, v201 op_sel_hi:[0,0,0] cbsz:4 blgp:4// 00000000561C: D3AC7000 180393D1 D3AD8C4C 853269A0
	s_sub_u32 s18, s18, s62                                    // 00000000562C: 80923E12
	v_mfma_scale_f32_16x16x128_f8f6f4 a[104:107], v[164:167], v[48:51], a[104:107], v209, v201 op_sel_hi:[0,0,0] cbsz:4 blgp:4// 000000005630: D3AC6800 180393D1 D3AD8C68 85A261A4
	ds_read_b32 v205, v224 offset:1280                         // 000000005640: D86C0500 CD0000E0
	v_mfma_scale_f32_16x16x128_f8f6f4 a[108:111], v[164:167], v[52:55], a[108:111], v209, v201 op_sel_hi:[0,0,0] cbsz:4 blgp:4// 000000005648: D3AC7800 180393D1 D3AD8C6C 85B269A4
	s_add_u32 s24, s64, s24                                    // 000000005658: 80181840
	v_mfma_scale_f32_16x16x128_f8f6f4 a[80:83], v[160:163], v[56:59], a[80:83], v209, v202 op_sel_hi:[0,0,0] cbsz:4 blgp:4// 00000000565C: D3AC6000 180395D1 D3AD8C50 854271A0
	ds_read_b32 v206, v224 offset:1536                         // 00000000566C: D86C0600 CE0000E0
	v_mfma_scale_f32_16x16x128_f8f6f4 a[84:87], v[160:163], v[60:63], a[84:87], v209, v202 op_sel_hi:[0,0,0] cbsz:4 blgp:4// 000000005674: D3AC7000 180395D1 D3AD8C54 855279A0
	s_addc_u32 s25, 0, s25                                     // 000000005684: 82191980
	v_mfma_scale_f32_16x16x128_f8f6f4 a[112:115], v[164:167], v[56:59], a[112:115], v209, v202 op_sel_hi:[0,0,0] cbsz:4 blgp:4// 000000005688: D3AC6800 180395D1 D3AD8C70 85C271A4
	ds_read_b32 v207, v224 offset:1792                         // 000000005698: D86C0700 CF0000E0
	v_mfma_scale_f32_16x16x128_f8f6f4 a[116:119], v[164:167], v[60:63], a[116:119], v209, v202 op_sel_hi:[0,0,0] cbsz:4 blgp:4// 0000000056A0: D3AC7800 180395D1 D3AD8C74 85D279A4
	s_sub_u32 s26, s26, s64                                    // 0000000056B0: 809A401A
	v_mfma_scale_f32_16x16x128_f8f6f4 a[88:91], v[160:163], v[64:67], a[88:91], v209, v203 op_sel_hi:[0,0,0] cbsz:4 blgp:4// 0000000056B4: D3AC6000 180397D1 D3AD8C58 856281A0
	v_mfma_scale_f32_16x16x128_f8f6f4 a[92:95], v[160:163], v[68:71], a[92:95], v209, v203 op_sel_hi:[0,0,0] cbsz:4 blgp:4// 0000000056C4: D3AC7000 180397D1 D3AD8C5C 857289A0
	v_mfma_scale_f32_16x16x128_f8f6f4 a[120:123], v[164:167], v[64:67], a[120:123], v209, v203 op_sel_hi:[0,0,0] cbsz:4 blgp:4// 0000000056D4: D3AC6800 180397D1 D3AD8C78 85E281A4
	v_mfma_scale_f32_16x16x128_f8f6f4 a[124:127], v[164:167], v[68:71], a[124:127], v209, v203 op_sel_hi:[0,0,0] cbsz:4 blgp:4// 0000000056E4: D3AC7800 180397D1 D3AD8C7C 85F289A4
	s_waitcnt vmcnt(15) lgkmcnt(0)                             // 0000000056F4: BF8C007F
	v_mfma_scale_f32_16x16x128_f8f6f4 a[128:131], v[136:139], v[72:75], a[128:131], v208, v204 op_sel_hi:[0,0,0] cbsz:4 blgp:4// 0000000056F8: D3AC6000 000399D0 D3AD8C80 86029188
	s_barrier                                                  // 000000005708: BF8A0000
	s_nop 0                                                    // 00000000570C: BF800000
	v_mfma_scale_f32_16x16x128_f8f6f4 a[132:135], v[136:139], v[76:79], a[132:135], v208, v204 op_sel_hi:[0,0,0] cbsz:4 blgp:4// 000000005710: D3AC7000 000399D0 D3AD8C84 86129988
	ds_read_b128 v[8:11], v221                                 // 000000005720: D9FE0000 080000DD
	v_mfma_scale_f32_16x16x128_f8f6f4 a[160:163], v[140:143], v[72:75], a[160:163], v208, v204 op_sel_hi:[0,0,0] cbsz:4 blgp:4// 000000005728: D3AC6800 000399D0 D3AD8CA0 8682918C
	s_add_u32 m0, 0, s59                                       // 000000005738: 807C3B80
	v_mfma_scale_f32_16x16x128_f8f6f4 a[164:167], v[140:143], v[76:79], a[164:167], v208, v204 op_sel_hi:[0,0,0] cbsz:4 blgp:4// 00000000573C: D3AC7800 000399D0 D3AD8CA4 8692998C
	ds_read_b128 v[40:43], v221 offset:64                      // 00000000574C: D9FE0040 280000DD
	v_mfma_scale_f32_16x16x128_f8f6f4 a[136:139], v[136:139], v[80:83], a[136:139], v208, v205 op_sel_hi:[0,0,0] cbsz:4 blgp:4// 000000005754: D3AC6000 00039BD0 D3AD8C88 8622A188
	buffer_load_dwordx4 v212, s[12:15], 0 offen lds            // 000000005764: E05D1000 800300D4
	v_mfma_scale_f32_16x16x128_f8f6f4 a[140:143], v[136:139], v[84:87], a[140:143], v208, v205 op_sel_hi:[0,0,0] cbsz:4 blgp:4// 00000000576C: D3AC7000 00039BD0 D3AD8C8C 8632A988
	ds_read_b128 v[12:15], v221 offset:512                     // 00000000577C: D9FE0200 0C0000DD
	v_mfma_scale_f32_16x16x128_f8f6f4 a[168:171], v[140:143], v[80:83], a[168:171], v208, v205 op_sel_hi:[0,0,0] cbsz:4 blgp:4// 000000005784: D3AC6800 00039BD0 D3AD8CA8 86A2A18C
	s_add_u32 m0, 0x1080, s59                                  // 000000005794: 807C3BFF 00001080
	v_mfma_scale_f32_16x16x128_f8f6f4 a[172:175], v[140:143], v[84:87], a[172:175], v208, v205 op_sel_hi:[0,0,0] cbsz:4 blgp:4// 00000000579C: D3AC7800 00039BD0 D3AD8CAC 86B2A98C
	ds_read_b128 v[44:47], v221 offset:576                     // 0000000057AC: D9FE0240 2C0000DD
	v_mfma_scale_f32_16x16x128_f8f6f4 a[144:147], v[136:139], v[88:91], a[144:147], v208, v206 op_sel_hi:[0,0,0] cbsz:4 blgp:4// 0000000057B4: D3AC6000 00039DD0 D3AD8C90 8642B188
	buffer_load_dwordx4 v213, s[12:15], 0 offen lds            // 0000000057C4: E05D1000 800300D5
	v_mfma_scale_f32_16x16x128_f8f6f4 a[148:151], v[136:139], v[92:95], a[148:151], v208, v206 op_sel_hi:[0,0,0] cbsz:4 blgp:4// 0000000057CC: D3AC7000 00039DD0 D3AD8C94 8652B988
	ds_read_b128 v[16:19], v221 offset:4224                    // 0000000057DC: D9FE1080 100000DD
	v_mfma_scale_f32_16x16x128_f8f6f4 a[176:179], v[140:143], v[88:91], a[176:179], v208, v206 op_sel_hi:[0,0,0] cbsz:4 blgp:4// 0000000057E4: D3AC6800 00039DD0 D3AD8CB0 86C2B18C
	s_add_u32 m0, 0x2100, s59                                  // 0000000057F4: 807C3BFF 00002100
	v_mfma_scale_f32_16x16x128_f8f6f4 a[180:183], v[140:143], v[92:95], a[180:183], v208, v206 op_sel_hi:[0,0,0] cbsz:4 blgp:4// 0000000057FC: D3AC7800 00039DD0 D3AD8CB4 86D2B98C
	ds_read_b128 v[48:51], v221 offset:4288                    // 00000000580C: D9FE10C0 300000DD
	v_mfma_scale_f32_16x16x128_f8f6f4 a[152:155], v[136:139], v[96:99], a[152:155], v208, v207 op_sel_hi:[0,0,0] cbsz:4 blgp:4// 000000005814: D3AC6000 00039FD0 D3AD8C98 8662C188
	buffer_load_dwordx4 v214, s[12:15], 0 offen lds            // 000000005824: E05D1000 800300D6
	v_mfma_scale_f32_16x16x128_f8f6f4 a[156:159], v[136:139], v[100:103], a[156:159], v208, v207 op_sel_hi:[0,0,0] cbsz:4 blgp:4// 00000000582C: D3AC7000 00039FD0 D3AD8C9C 8672C988
	ds_read_b128 v[20:23], v221 offset:4736                    // 00000000583C: D9FE1280 140000DD
	v_mfma_scale_f32_16x16x128_f8f6f4 a[184:187], v[140:143], v[96:99], a[184:187], v208, v207 op_sel_hi:[0,0,0] cbsz:4 blgp:4// 000000005844: D3AC6800 00039FD0 D3AD8CB8 86E2C18C
	s_add_u32 m0, 0x3180, s59                                  // 000000005854: 807C3BFF 00003180
	v_mfma_scale_f32_16x16x128_f8f6f4 a[188:191], v[140:143], v[100:103], a[188:191], v208, v207 op_sel_hi:[0,0,0] cbsz:4 blgp:4// 00000000585C: D3AC7800 00039FD0 D3AD8CBC 86F2C98C
	ds_read_b128 v[52:55], v221 offset:4800                    // 00000000586C: D9FE12C0 340000DD
	v_mfma_scale_f32_16x16x128_f8f6f4 a[192:195], v[144:147], v[72:75], a[192:195], v209, v204 op_sel_hi:[0,0,0] cbsz:4 blgp:4// 000000005874: D3AC6000 000399D1 D3AD8CC0 87029190
	buffer_load_dwordx4 v215, s[12:15], 0 offen lds            // 000000005884: E05D1000 800300D7
	v_mfma_scale_f32_16x16x128_f8f6f4 a[196:199], v[144:147], v[76:79], a[196:199], v209, v204 op_sel_hi:[0,0,0] cbsz:4 blgp:4// 00000000588C: D3AC7000 000399D1 D3AD8CC4 87129990
	ds_read_b128 v[24:27], v221 offset:8448                    // 00000000589C: D9FE2100 180000DD
	v_mfma_scale_f32_16x16x128_f8f6f4 a[224:227], v[148:151], v[72:75], a[224:227], v209, v204 op_sel_hi:[0,0,0] cbsz:4 blgp:4// 0000000058A4: D3AC6800 000399D1 D3AD8CE0 87829194
	s_add_u32 m0, 0, s60                                       // 0000000058B4: 807C3C80
	v_mfma_scale_f32_16x16x128_f8f6f4 a[228:231], v[148:151], v[76:79], a[228:231], v209, v204 op_sel_hi:[0,0,0] cbsz:4 blgp:4// 0000000058B8: D3AC7800 000399D1 D3AD8CE4 87929994
	ds_read_b128 v[56:59], v221 offset:8512                    // 0000000058C8: D9FE2140 380000DD
	v_mfma_scale_f32_16x16x128_f8f6f4 a[200:203], v[144:147], v[80:83], a[200:203], v209, v205 op_sel_hi:[0,0,0] cbsz:4 blgp:4// 0000000058D0: D3AC6000 00039BD1 D3AD8CC8 8722A190
	buffer_load_dword v222, s[20:23], 0 offen lds              // 0000000058E0: E0511000 800500DE
	v_mfma_scale_f32_16x16x128_f8f6f4 a[204:207], v[144:147], v[84:87], a[204:207], v209, v205 op_sel_hi:[0,0,0] cbsz:4 blgp:4// 0000000058E8: D3AC7000 00039BD1 D3AD8CCC 8732A990
	ds_read_b128 v[28:31], v221 offset:8960                    // 0000000058F8: D9FE2300 1C0000DD
	v_mfma_scale_f32_16x16x128_f8f6f4 a[232:235], v[148:151], v[80:83], a[232:235], v209, v205 op_sel_hi:[0,0,0] cbsz:4 blgp:4// 000000005900: D3AC6800 00039BD1 D3AD8CE8 87A2A194
	s_add_u32 m0, 0x4200, s59                                  // 000000005910: 807C3BFF 00004200
	v_mfma_scale_f32_16x16x128_f8f6f4 a[236:239], v[148:151], v[84:87], a[236:239], v209, v205 op_sel_hi:[0,0,0] cbsz:4 blgp:4// 000000005918: D3AC7800 00039BD1 D3AD8CEC 87B2A994
	ds_read_b128 v[60:63], v221 offset:9024                    // 000000005928: D9FE2340 3C0000DD
	v_mfma_scale_f32_16x16x128_f8f6f4 a[208:211], v[144:147], v[88:91], a[208:211], v209, v206 op_sel_hi:[0,0,0] cbsz:4 blgp:4// 000000005930: D3AC6000 00039DD1 D3AD8CD0 8742B190
	buffer_load_dwordx4 v216, s[12:15], 0 offen lds            // 000000005940: E05D1000 800300D8
	v_mfma_scale_f32_16x16x128_f8f6f4 a[212:215], v[144:147], v[92:95], a[212:215], v209, v206 op_sel_hi:[0,0,0] cbsz:4 blgp:4// 000000005948: D3AC7000 00039DD1 D3AD8CD4 8752B990
	ds_read_b128 v[32:35], v221 offset:12672                   // 000000005958: D9FE3180 200000DD
	v_mfma_scale_f32_16x16x128_f8f6f4 a[240:243], v[148:151], v[88:91], a[240:243], v209, v206 op_sel_hi:[0,0,0] cbsz:4 blgp:4// 000000005960: D3AC6800 00039DD1 D3AD8CF0 87C2B194
	s_add_u32 m0, 0x5280, s59                                  // 000000005970: 807C3BFF 00005280
	v_mfma_scale_f32_16x16x128_f8f6f4 a[244:247], v[148:151], v[92:95], a[244:247], v209, v206 op_sel_hi:[0,0,0] cbsz:4 blgp:4// 000000005978: D3AC7800 00039DD1 D3AD8CF4 87D2B994
	ds_read_b128 v[64:67], v221 offset:12736                   // 000000005988: D9FE31C0 400000DD
	v_mfma_scale_f32_16x16x128_f8f6f4 a[216:219], v[144:147], v[96:99], a[216:219], v209, v207 op_sel_hi:[0,0,0] cbsz:4 blgp:4// 000000005990: D3AC6000 00039FD1 D3AD8CD8 8762C190
	buffer_load_dwordx4 v217, s[12:15], 0 offen lds            // 0000000059A0: E05D1000 800300D9
	v_mfma_scale_f32_16x16x128_f8f6f4 a[220:223], v[144:147], v[100:103], a[220:223], v209, v207 op_sel_hi:[0,0,0] cbsz:4 blgp:4// 0000000059A8: D3AC7000 00039FD1 D3AD8CDC 8772C990
	ds_read_b128 v[36:39], v221 offset:13184                   // 0000000059B8: D9FE3380 240000DD
	v_mfma_scale_f32_16x16x128_f8f6f4 a[248:251], v[148:151], v[96:99], a[248:251], v209, v207 op_sel_hi:[0,0,0] cbsz:4 blgp:4// 0000000059C0: D3AC6800 00039FD1 D3AD8CF8 87E2C194
	s_add_u32 m0, 0x6300, s59                                  // 0000000059D0: 807C3BFF 00006300
	v_mfma_scale_f32_16x16x128_f8f6f4 a[252:255], v[148:151], v[100:103], a[252:255], v209, v207 op_sel_hi:[0,0,0] cbsz:4 blgp:4// 0000000059D8: D3AC7800 00039FD1 D3AD8CFC 87F2C994
	ds_read_b128 v[68:71], v221 offset:13248                   // 0000000059E8: D9FE33C0 440000DD
	v_mfma_scale_f32_16x16x128_f8f6f4 a[128:131], v[152:155], v[104:107], a[128:131], v208, v204 op_sel_hi:[0,0,0] cbsz:4 blgp:4// 0000000059F0: D3AC6000 180399D0 D3AD8C80 8602D198
	buffer_load_dwordx4 v218, s[12:15], 0 offen lds            // 000000005A00: E05D1000 800300DA
	v_mfma_scale_f32_16x16x128_f8f6f4 a[132:135], v[152:155], v[108:111], a[132:135], v208, v204 op_sel_hi:[0,0,0] cbsz:4 blgp:4// 000000005A08: D3AC7000 180399D0 D3AD8C84 8612D998
	ds_read_b32 v200, v224 offset:2048                         // 000000005A18: D86C0800 C80000E0
	v_mfma_scale_f32_16x16x128_f8f6f4 a[160:163], v[156:159], v[104:107], a[160:163], v208, v204 op_sel_hi:[0,0,0] cbsz:4 blgp:4// 000000005A20: D3AC6800 180399D0 D3AD8CA0 8682D19C
	s_add_u32 m0, 0x7380, s59                                  // 000000005A30: 807C3BFF 00007380
	v_mfma_scale_f32_16x16x128_f8f6f4 a[164:167], v[156:159], v[108:111], a[164:167], v208, v204 op_sel_hi:[0,0,0] cbsz:4 blgp:4// 000000005A38: D3AC7800 180399D0 D3AD8CA4 8692D99C
	ds_read_b32 v201, v224 offset:2304                         // 000000005A48: D86C0900 C90000E0
	v_mfma_scale_f32_16x16x128_f8f6f4 a[136:139], v[152:155], v[112:115], a[136:139], v208, v205 op_sel_hi:[0,0,0] cbsz:4 blgp:4// 000000005A50: D3AC6000 18039BD0 D3AD8C88 8622E198
	buffer_load_dwordx4 v219, s[12:15], 0 offen lds            // 000000005A60: E05D1000 800300DB
	v_mfma_scale_f32_16x16x128_f8f6f4 a[140:143], v[152:155], v[116:119], a[140:143], v208, v205 op_sel_hi:[0,0,0] cbsz:4 blgp:4// 000000005A68: D3AC7000 18039BD0 D3AD8C8C 8632E998
	ds_read_b32 v202, v224 offset:2560                         // 000000005A78: D86C0A00 CA0000E0
	v_mfma_scale_f32_16x16x128_f8f6f4 a[168:171], v[156:159], v[112:115], a[168:171], v208, v205 op_sel_hi:[0,0,0] cbsz:4 blgp:4// 000000005A80: D3AC6800 18039BD0 D3AD8CA8 86A2E19C
	s_add_u32 m0, 0x400, s60                                   // 000000005A90: 807C3CFF 00000400
	v_mfma_scale_f32_16x16x128_f8f6f4 a[172:175], v[156:159], v[116:119], a[172:175], v208, v205 op_sel_hi:[0,0,0] cbsz:4 blgp:4// 000000005A98: D3AC7800 18039BD0 D3AD8CAC 86B2E99C
	ds_read_b32 v203, v224 offset:2816                         // 000000005AA8: D86C0B00 CB0000E0
	v_mfma_scale_f32_16x16x128_f8f6f4 a[144:147], v[152:155], v[120:123], a[144:147], v208, v206 op_sel_hi:[0,0,0] cbsz:4 blgp:4// 000000005AB0: D3AC6000 18039DD0 D3AD8C90 8642F198
	buffer_load_dword v223, s[20:23], 0 offen lds              // 000000005AC0: E0511000 800500DF
	v_mfma_scale_f32_16x16x128_f8f6f4 a[148:151], v[152:155], v[124:127], a[148:151], v208, v206 op_sel_hi:[0,0,0] cbsz:4 blgp:4// 000000005AC8: D3AC7000 18039DD0 D3AD8C94 8652F998
	v_mfma_scale_f32_16x16x128_f8f6f4 a[176:179], v[156:159], v[120:123], a[176:179], v208, v206 op_sel_hi:[0,0,0] cbsz:4 blgp:4// 000000005AD8: D3AC6800 18039DD0 D3AD8CB0 86C2F19C
	s_add_u32 s52, 0x300, s50                                  // 000000005AE8: 803432FF 00000300
	v_mfma_scale_f32_16x16x128_f8f6f4 a[180:183], v[156:159], v[124:127], a[180:183], v208, v206 op_sel_hi:[0,0,0] cbsz:4 blgp:4// 000000005AF0: D3AC7800 18039DD0 D3AD8CB4 86D2F99C
	v_mfma_scale_f32_16x16x128_f8f6f4 a[152:155], v[152:155], v[128:131], a[152:155], v208, v207 op_sel_hi:[0,0,0] cbsz:4 blgp:4// 000000005B00: D3AC6000 18039FD0 D3AD8C98 86630198
	s_cmp_lt_u32 s52, s51                                      // 000000005B10: BF0A3334
	v_mfma_scale_f32_16x16x128_f8f6f4 a[156:159], v[152:155], v[132:135], a[156:159], v208, v207 op_sel_hi:[0,0,0] cbsz:4 blgp:4// 000000005B14: D3AC7000 18039FD0 D3AD8C9C 86730998
	v_mfma_scale_f32_16x16x128_f8f6f4 a[184:187], v[156:159], v[128:131], a[184:187], v208, v207 op_sel_hi:[0,0,0] cbsz:4 blgp:4// 000000005B24: D3AC6800 18039FD0 D3AD8CB8 86E3019C
	s_cselect_b32 s61, s61, 0                                  // 000000005B34: 853D803D
	v_mfma_scale_f32_16x16x128_f8f6f4 a[188:191], v[156:159], v[132:135], a[188:191], v208, v207 op_sel_hi:[0,0,0] cbsz:4 blgp:4// 000000005B38: D3AC7800 18039FD0 D3AD8CBC 86F3099C
	v_mfma_scale_f32_16x16x128_f8f6f4 a[192:195], v[160:163], v[104:107], a[192:195], v209, v204 op_sel_hi:[0,0,0] cbsz:4 blgp:4// 000000005B48: D3AC6000 180399D1 D3AD8CC0 8702D1A0
	s_cselect_b32 s63, s63, 0                                  // 000000005B58: 853F803F
	v_mfma_scale_f32_16x16x128_f8f6f4 a[196:199], v[160:163], v[108:111], a[196:199], v209, v204 op_sel_hi:[0,0,0] cbsz:4 blgp:4// 000000005B5C: D3AC7000 180399D1 D3AD8CC4 8712D9A0
	v_mfma_scale_f32_16x16x128_f8f6f4 a[224:227], v[164:167], v[104:107], a[224:227], v209, v204 op_sel_hi:[0,0,0] cbsz:4 blgp:4// 000000005B6C: D3AC6800 180399D1 D3AD8CE0 8782D1A4
	s_add_u32 s12, s61, s12                                    // 000000005B7C: 800C0C3D
	v_mfma_scale_f32_16x16x128_f8f6f4 a[228:231], v[164:167], v[108:111], a[228:231], v209, v204 op_sel_hi:[0,0,0] cbsz:4 blgp:4// 000000005B80: D3AC7800 180399D1 D3AD8CE4 8792D9A4
	v_mfma_scale_f32_16x16x128_f8f6f4 a[200:203], v[160:163], v[112:115], a[200:203], v209, v205 op_sel_hi:[0,0,0] cbsz:4 blgp:4// 000000005B90: D3AC6000 18039BD1 D3AD8CC8 8722E1A0
	s_addc_u32 s13, 0, s13                                     // 000000005BA0: 820D0D80
	v_mfma_scale_f32_16x16x128_f8f6f4 a[204:207], v[160:163], v[116:119], a[204:207], v209, v205 op_sel_hi:[0,0,0] cbsz:4 blgp:4// 000000005BA4: D3AC7000 18039BD1 D3AD8CCC 8732E9A0
	v_mfma_scale_f32_16x16x128_f8f6f4 a[232:235], v[164:167], v[112:115], a[232:235], v209, v205 op_sel_hi:[0,0,0] cbsz:4 blgp:4// 000000005BB4: D3AC6800 18039BD1 D3AD8CE8 87A2E1A4
	s_sub_u32 s14, s14, s61                                    // 000000005BC4: 808E3D0E
	v_mfma_scale_f32_16x16x128_f8f6f4 a[236:239], v[164:167], v[116:119], a[236:239], v209, v205 op_sel_hi:[0,0,0] cbsz:4 blgp:4// 000000005BC8: D3AC7800 18039BD1 D3AD8CEC 87B2E9A4
	v_mfma_scale_f32_16x16x128_f8f6f4 a[208:211], v[160:163], v[120:123], a[208:211], v209, v206 op_sel_hi:[0,0,0] cbsz:4 blgp:4// 000000005BD8: D3AC6000 18039DD1 D3AD8CD0 8742F1A0
	s_add_u32 s20, s63, s20                                    // 000000005BE8: 8014143F
	v_mfma_scale_f32_16x16x128_f8f6f4 a[212:215], v[160:163], v[124:127], a[212:215], v209, v206 op_sel_hi:[0,0,0] cbsz:4 blgp:4// 000000005BEC: D3AC7000 18039DD1 D3AD8CD4 8752F9A0
	v_mfma_scale_f32_16x16x128_f8f6f4 a[240:243], v[164:167], v[120:123], a[240:243], v209, v206 op_sel_hi:[0,0,0] cbsz:4 blgp:4// 000000005BFC: D3AC6800 18039DD1 D3AD8CF0 87C2F1A4
	s_addc_u32 s21, 0, s21                                     // 000000005C0C: 82151580
	v_mfma_scale_f32_16x16x128_f8f6f4 a[244:247], v[164:167], v[124:127], a[244:247], v209, v206 op_sel_hi:[0,0,0] cbsz:4 blgp:4// 000000005C10: D3AC7800 18039DD1 D3AD8CF4 87D2F9A4
	v_mfma_scale_f32_16x16x128_f8f6f4 a[216:219], v[160:163], v[128:131], a[216:219], v209, v207 op_sel_hi:[0,0,0] cbsz:4 blgp:4// 000000005C20: D3AC6000 18039FD1 D3AD8CD8 876301A0
	s_addk_i32 s50, 0x100                                      // 000000005C30: B7320100
	v_mfma_scale_f32_16x16x128_f8f6f4 a[220:223], v[160:163], v[132:135], a[220:223], v209, v207 op_sel_hi:[0,0,0] cbsz:4 blgp:4// 000000005C34: D3AC7000 18039FD1 D3AD8CDC 877309A0
	s_cmp_lt_i32 s50, s51                                      // 000000005C44: BF043332
	v_mfma_scale_f32_16x16x128_f8f6f4 a[248:251], v[164:167], v[128:131], a[248:251], v209, v207 op_sel_hi:[0,0,0] cbsz:4 blgp:4// 000000005C48: D3AC6800 18039FD1 D3AD8CF8 87E301A4
	v_mfma_scale_f32_16x16x128_f8f6f4 a[252:255], v[164:167], v[132:135], a[252:255], v209, v207 op_sel_hi:[0,0,0] cbsz:4 blgp:4// 000000005C58: D3AC7800 18039FD1 D3AD8CFC 87F309A4
	s_cbranch_scc0 label_0EC7                                  // 000000005C68: BF8402AC
	s_waitcnt vmcnt(10) lgkmcnt(0)                             // 000000005C6C: BF8C007A
	v_mfma_scale_f32_16x16x128_f8f6f4 a[0:3], v[168:171], v[8:11], a[0:3], v210, v200 op_sel_hi:[0,0,0] cbsz:4 blgp:4// 000000005C70: D3AC6000 000391D2 D3AD8C00 840211A8
	s_barrier                                                  // 000000005C80: BF8A0000
	s_nop 0                                                    // 000000005C84: BF800000
	s_nop 0                                                    // 000000005C88: BF800000
	v_mfma_scale_f32_16x16x128_f8f6f4 a[4:7], v[168:171], v[12:15], a[4:7], v210, v200 op_sel_hi:[0,0,0] cbsz:4 blgp:4// 000000005C8C: D3AC7000 000391D2 D3AD8C04 841219A8
	ds_read_b128 v[72:75], v221 offset:16896                   // 000000005C9C: D9FE4200 480000DD
	v_mfma_scale_f32_16x16x128_f8f6f4 a[32:35], v[172:175], v[8:11], a[32:35], v210, v200 op_sel_hi:[0,0,0] cbsz:4 blgp:4// 000000005CA4: D3AC6800 000391D2 D3AD8C20 848211AC
	buffer_load_dwordx4 v[136:139], v225, s[16:19], 0 offen    // 000000005CB4: E05C1000 800488E1
	v_mfma_scale_f32_16x16x128_f8f6f4 a[36:39], v[172:175], v[12:15], a[36:39], v210, v200 op_sel_hi:[0,0,0] cbsz:4 blgp:4// 000000005CBC: D3AC7800 000391D2 D3AD8C24 849219AC
	v_mfma_scale_f32_16x16x128_f8f6f4 a[8:11], v[168:171], v[16:19], a[8:11], v210, v201 op_sel_hi:[0,0,0] cbsz:4 blgp:4// 000000005CCC: D3AC6000 000393D2 D3AD8C08 842221A8
	v_mfma_scale_f32_16x16x128_f8f6f4 a[12:15], v[168:171], v[20:23], a[12:15], v210, v201 op_sel_hi:[0,0,0] cbsz:4 blgp:4// 000000005CDC: D3AC7000 000393D2 D3AD8C0C 843229A8
	ds_read_b128 v[104:107], v221 offset:16960                 // 000000005CEC: D9FE4240 680000DD
	v_mfma_scale_f32_16x16x128_f8f6f4 a[40:43], v[172:175], v[16:19], a[40:43], v210, v201 op_sel_hi:[0,0,0] cbsz:4 blgp:4// 000000005CF4: D3AC6800 000393D2 D3AD8C28 84A221AC
	buffer_load_dwordx4 v[140:143], v226, s[16:19], 0 offen    // 000000005D04: E05C1000 80048CE2
	v_mfma_scale_f32_16x16x128_f8f6f4 a[44:47], v[172:175], v[20:23], a[44:47], v210, v201 op_sel_hi:[0,0,0] cbsz:4 blgp:4// 000000005D0C: D3AC7800 000393D2 D3AD8C2C 84B229AC
	v_mfma_scale_f32_16x16x128_f8f6f4 a[16:19], v[168:171], v[24:27], a[16:19], v210, v202 op_sel_hi:[0,0,0] cbsz:4 blgp:4// 000000005D1C: D3AC6000 000395D2 D3AD8C10 844231A8
	v_mfma_scale_f32_16x16x128_f8f6f4 a[20:23], v[168:171], v[28:31], a[20:23], v210, v202 op_sel_hi:[0,0,0] cbsz:4 blgp:4// 000000005D2C: D3AC7000 000395D2 D3AD8C14 845239A8
	ds_read_b128 v[76:79], v221 offset:17408                   // 000000005D3C: D9FE4400 4C0000DD
	v_mfma_scale_f32_16x16x128_f8f6f4 a[48:51], v[172:175], v[24:27], a[48:51], v210, v202 op_sel_hi:[0,0,0] cbsz:4 blgp:4// 000000005D44: D3AC6800 000395D2 D3AD8C30 84C231AC
	buffer_load_dwordx4 v[144:147], v227, s[16:19], 0 offen    // 000000005D54: E05C1000 800490E3
	v_mfma_scale_f32_16x16x128_f8f6f4 a[52:55], v[172:175], v[28:31], a[52:55], v210, v202 op_sel_hi:[0,0,0] cbsz:4 blgp:4// 000000005D5C: D3AC7800 000395D2 D3AD8C34 84D239AC
	v_mfma_scale_f32_16x16x128_f8f6f4 a[24:27], v[168:171], v[32:35], a[24:27], v210, v203 op_sel_hi:[0,0,0] cbsz:4 blgp:4// 000000005D6C: D3AC6000 000397D2 D3AD8C18 846241A8
	v_mfma_scale_f32_16x16x128_f8f6f4 a[28:31], v[168:171], v[36:39], a[28:31], v210, v203 op_sel_hi:[0,0,0] cbsz:4 blgp:4// 000000005D7C: D3AC7000 000397D2 D3AD8C1C 847249A8
	ds_read_b128 v[108:111], v221 offset:17472                 // 000000005D8C: D9FE4440 6C0000DD
	v_mfma_scale_f32_16x16x128_f8f6f4 a[56:59], v[172:175], v[32:35], a[56:59], v210, v203 op_sel_hi:[0,0,0] cbsz:4 blgp:4// 000000005D94: D3AC6800 000397D2 D3AD8C38 84E241AC
	buffer_load_dwordx4 v[148:151], v228, s[16:19], 0 offen    // 000000005DA4: E05C1000 800494E4
	v_mfma_scale_f32_16x16x128_f8f6f4 a[60:63], v[172:175], v[36:39], a[60:63], v210, v203 op_sel_hi:[0,0,0] cbsz:4 blgp:4// 000000005DAC: D3AC7800 000397D2 D3AD8C3C 84F249AC
	v_mfma_scale_f32_16x16x128_f8f6f4 a[64:67], v[176:179], v[8:11], a[64:67], v211, v200 op_sel_hi:[0,0,0] cbsz:4 blgp:4// 000000005DBC: D3AC6000 000391D3 D3AD8C40 850211B0
	v_mfma_scale_f32_16x16x128_f8f6f4 a[68:71], v[176:179], v[12:15], a[68:71], v211, v200 op_sel_hi:[0,0,0] cbsz:4 blgp:4// 000000005DCC: D3AC7000 000391D3 D3AD8C44 851219B0
	ds_read_b128 v[80:83], v221 offset:21120                   // 000000005DDC: D9FE5280 500000DD
	v_mfma_scale_f32_16x16x128_f8f6f4 a[96:99], v[180:183], v[8:11], a[96:99], v211, v200 op_sel_hi:[0,0,0] cbsz:4 blgp:4// 000000005DE4: D3AC6800 000391D3 D3AD8C60 858211B4
	buffer_load_dwordx4 v[152:155], v229, s[16:19], 0 offen    // 000000005DF4: E05C1000 800498E5
	v_mfma_scale_f32_16x16x128_f8f6f4 a[100:103], v[180:183], v[12:15], a[100:103], v211, v200 op_sel_hi:[0,0,0] cbsz:4 blgp:4// 000000005DFC: D3AC7800 000391D3 D3AD8C64 859219B4
	v_mfma_scale_f32_16x16x128_f8f6f4 a[72:75], v[176:179], v[16:19], a[72:75], v211, v201 op_sel_hi:[0,0,0] cbsz:4 blgp:4// 000000005E0C: D3AC6000 000393D3 D3AD8C48 852221B0
	v_mfma_scale_f32_16x16x128_f8f6f4 a[76:79], v[176:179], v[20:23], a[76:79], v211, v201 op_sel_hi:[0,0,0] cbsz:4 blgp:4// 000000005E1C: D3AC7000 000393D3 D3AD8C4C 853229B0
	ds_read_b128 v[112:115], v221 offset:21184                 // 000000005E2C: D9FE52C0 700000DD
	v_mfma_scale_f32_16x16x128_f8f6f4 a[104:107], v[180:183], v[16:19], a[104:107], v211, v201 op_sel_hi:[0,0,0] cbsz:4 blgp:4// 000000005E34: D3AC6800 000393D3 D3AD8C68 85A221B4
	buffer_load_dwordx4 v[156:159], v230, s[16:19], 0 offen    // 000000005E44: E05C1000 80049CE6
	v_mfma_scale_f32_16x16x128_f8f6f4 a[108:111], v[180:183], v[20:23], a[108:111], v211, v201 op_sel_hi:[0,0,0] cbsz:4 blgp:4// 000000005E4C: D3AC7800 000393D3 D3AD8C6C 85B229B4
	v_mfma_scale_f32_16x16x128_f8f6f4 a[80:83], v[176:179], v[24:27], a[80:83], v211, v202 op_sel_hi:[0,0,0] cbsz:4 blgp:4// 000000005E5C: D3AC6000 000395D3 D3AD8C50 854231B0
	v_mfma_scale_f32_16x16x128_f8f6f4 a[84:87], v[176:179], v[28:31], a[84:87], v211, v202 op_sel_hi:[0,0,0] cbsz:4 blgp:4// 000000005E6C: D3AC7000 000395D3 D3AD8C54 855239B0
	ds_read_b128 v[84:87], v221 offset:21632                   // 000000005E7C: D9FE5480 540000DD
	v_mfma_scale_f32_16x16x128_f8f6f4 a[112:115], v[180:183], v[24:27], a[112:115], v211, v202 op_sel_hi:[0,0,0] cbsz:4 blgp:4// 000000005E84: D3AC6800 000395D3 D3AD8C70 85C231B4
	buffer_load_dwordx4 v[160:163], v231, s[16:19], 0 offen    // 000000005E94: E05C1000 8004A0E7
	v_mfma_scale_f32_16x16x128_f8f6f4 a[116:119], v[180:183], v[28:31], a[116:119], v211, v202 op_sel_hi:[0,0,0] cbsz:4 blgp:4// 000000005E9C: D3AC7800 000395D3 D3AD8C74 85D239B4
	v_mfma_scale_f32_16x16x128_f8f6f4 a[88:91], v[176:179], v[32:35], a[88:91], v211, v203 op_sel_hi:[0,0,0] cbsz:4 blgp:4// 000000005EAC: D3AC6000 000397D3 D3AD8C58 856241B0
	v_mfma_scale_f32_16x16x128_f8f6f4 a[92:95], v[176:179], v[36:39], a[92:95], v211, v203 op_sel_hi:[0,0,0] cbsz:4 blgp:4// 000000005EBC: D3AC7000 000397D3 D3AD8C5C 857249B0
	ds_read_b128 v[116:119], v221 offset:21696                 // 000000005ECC: D9FE54C0 740000DD
	v_mfma_scale_f32_16x16x128_f8f6f4 a[120:123], v[180:183], v[32:35], a[120:123], v211, v203 op_sel_hi:[0,0,0] cbsz:4 blgp:4// 000000005ED4: D3AC6800 000397D3 D3AD8C78 85E241B4
	buffer_load_dwordx4 v[164:167], v232, s[16:19], 0 offen    // 000000005EE4: E05C1000 8004A4E8
	v_mfma_scale_f32_16x16x128_f8f6f4 a[124:127], v[180:183], v[36:39], a[124:127], v211, v203 op_sel_hi:[0,0,0] cbsz:4 blgp:4// 000000005EEC: D3AC7800 000397D3 D3AD8C7C 85F249B4
	v_mfma_scale_f32_16x16x128_f8f6f4 a[0:3], v[184:187], v[40:43], a[0:3], v210, v200 op_sel_hi:[0,0,0] cbsz:4 blgp:4// 000000005EFC: D3AC6000 180391D2 D3AD8C00 840251B8
	v_mfma_scale_f32_16x16x128_f8f6f4 a[4:7], v[184:187], v[44:47], a[4:7], v210, v200 op_sel_hi:[0,0,0] cbsz:4 blgp:4// 000000005F0C: D3AC7000 180391D2 D3AD8C04 841259B8
	ds_read_b128 v[88:91], v221 offset:25344                   // 000000005F1C: D9FE6300 580000DD
	v_mfma_scale_f32_16x16x128_f8f6f4 a[32:35], v[188:191], v[40:43], a[32:35], v210, v200 op_sel_hi:[0,0,0] cbsz:4 blgp:4// 000000005F24: D3AC6800 180391D2 D3AD8C20 848251BC
	buffer_load_dword v208, v233, s[24:27], 0 offen            // 000000005F34: E0501000 8006D0E9
	v_mfma_scale_f32_16x16x128_f8f6f4 a[36:39], v[188:191], v[44:47], a[36:39], v210, v200 op_sel_hi:[0,0,0] cbsz:4 blgp:4// 000000005F3C: D3AC7800 180391D2 D3AD8C24 849259BC
	v_mfma_scale_f32_16x16x128_f8f6f4 a[8:11], v[184:187], v[48:51], a[8:11], v210, v201 op_sel_hi:[0,0,0] cbsz:4 blgp:4// 000000005F4C: D3AC6000 180393D2 D3AD8C08 842261B8
	v_mfma_scale_f32_16x16x128_f8f6f4 a[12:15], v[184:187], v[52:55], a[12:15], v210, v201 op_sel_hi:[0,0,0] cbsz:4 blgp:4// 000000005F5C: D3AC7000 180393D2 D3AD8C0C 843269B8
	ds_read_b128 v[120:123], v221 offset:25408                 // 000000005F6C: D9FE6340 780000DD
	v_mfma_scale_f32_16x16x128_f8f6f4 a[40:43], v[188:191], v[48:51], a[40:43], v210, v201 op_sel_hi:[0,0,0] cbsz:4 blgp:4// 000000005F74: D3AC6800 180393D2 D3AD8C28 84A261BC
	buffer_load_dword v209, v234, s[24:27], 0 offen            // 000000005F84: E0501000 8006D1EA
	v_mfma_scale_f32_16x16x128_f8f6f4 a[44:47], v[188:191], v[52:55], a[44:47], v210, v201 op_sel_hi:[0,0,0] cbsz:4 blgp:4// 000000005F8C: D3AC7800 180393D2 D3AD8C2C 84B269BC
	v_mfma_scale_f32_16x16x128_f8f6f4 a[16:19], v[184:187], v[56:59], a[16:19], v210, v202 op_sel_hi:[0,0,0] cbsz:4 blgp:4// 000000005F9C: D3AC6000 180395D2 D3AD8C10 844271B8
	ds_read_b128 v[92:95], v221 offset:25856                   // 000000005FAC: D9FE6500 5C0000DD
	v_mfma_scale_f32_16x16x128_f8f6f4 a[20:23], v[184:187], v[60:63], a[20:23], v210, v202 op_sel_hi:[0,0,0] cbsz:4 blgp:4// 000000005FB4: D3AC7000 180395D2 D3AD8C14 845279B8
	s_add_u32 s53, 0x200, s50                                  // 000000005FC4: 803532FF 00000200
	v_mfma_scale_f32_16x16x128_f8f6f4 a[48:51], v[188:191], v[56:59], a[48:51], v210, v202 op_sel_hi:[0,0,0] cbsz:4 blgp:4// 000000005FCC: D3AC6800 180395D2 D3AD8C30 84C271BC
	ds_read_b128 v[124:127], v221 offset:25920                 // 000000005FDC: D9FE6540 7C0000DD
	v_mfma_scale_f32_16x16x128_f8f6f4 a[52:55], v[188:191], v[60:63], a[52:55], v210, v202 op_sel_hi:[0,0,0] cbsz:4 blgp:4// 000000005FE4: D3AC7800 180395D2 D3AD8C34 84D279BC
	s_cmp_lt_u32 s53, s51                                      // 000000005FF4: BF0A3335
	v_mfma_scale_f32_16x16x128_f8f6f4 a[24:27], v[184:187], v[64:67], a[24:27], v210, v203 op_sel_hi:[0,0,0] cbsz:4 blgp:4// 000000005FF8: D3AC6000 180397D2 D3AD8C18 846281B8
	ds_read_b128 v[96:99], v221 offset:29568                   // 000000006008: D9FE7380 600000DD
	v_mfma_scale_f32_16x16x128_f8f6f4 a[28:31], v[184:187], v[68:71], a[28:31], v210, v203 op_sel_hi:[0,0,0] cbsz:4 blgp:4// 000000006010: D3AC7000 180397D2 D3AD8C1C 847289B8
	s_cselect_b32 s62, s62, 0                                  // 000000006020: 853E803E
	v_mfma_scale_f32_16x16x128_f8f6f4 a[56:59], v[188:191], v[64:67], a[56:59], v210, v203 op_sel_hi:[0,0,0] cbsz:4 blgp:4// 000000006024: D3AC6800 180397D2 D3AD8C38 84E281BC
	ds_read_b128 v[128:131], v221 offset:29632                 // 000000006034: D9FE73C0 800000DD
	v_mfma_scale_f32_16x16x128_f8f6f4 a[60:63], v[188:191], v[68:71], a[60:63], v210, v203 op_sel_hi:[0,0,0] cbsz:4 blgp:4// 00000000603C: D3AC7800 180397D2 D3AD8C3C 84F289BC
	s_cselect_b32 s64, s64, 0                                  // 00000000604C: 85408040
	v_mfma_scale_f32_16x16x128_f8f6f4 a[64:67], v[192:195], v[40:43], a[64:67], v211, v200 op_sel_hi:[0,0,0] cbsz:4 blgp:4// 000000006050: D3AC6000 180391D3 D3AD8C40 850251C0
	ds_read_b128 v[100:103], v221 offset:30080                 // 000000006060: D9FE7580 640000DD
	v_mfma_scale_f32_16x16x128_f8f6f4 a[68:71], v[192:195], v[44:47], a[68:71], v211, v200 op_sel_hi:[0,0,0] cbsz:4 blgp:4// 000000006068: D3AC7000 180391D3 D3AD8C44 851259C0
	s_add_u32 s16, s62, s16                                    // 000000006078: 8010103E
	v_mfma_scale_f32_16x16x128_f8f6f4 a[96:99], v[196:199], v[40:43], a[96:99], v211, v200 op_sel_hi:[0,0,0] cbsz:4 blgp:4// 00000000607C: D3AC6800 180391D3 D3AD8C60 858251C4
	ds_read_b128 v[132:135], v221 offset:30144                 // 00000000608C: D9FE75C0 840000DD
	v_mfma_scale_f32_16x16x128_f8f6f4 a[100:103], v[196:199], v[44:47], a[100:103], v211, v200 op_sel_hi:[0,0,0] cbsz:4 blgp:4// 000000006094: D3AC7800 180391D3 D3AD8C64 859259C4
	s_addc_u32 s17, 0, s17                                     // 0000000060A4: 82111180
	v_mfma_scale_f32_16x16x128_f8f6f4 a[72:75], v[192:195], v[48:51], a[72:75], v211, v201 op_sel_hi:[0,0,0] cbsz:4 blgp:4// 0000000060A8: D3AC6000 180393D3 D3AD8C48 852261C0
	ds_read_b32 v204, v224 offset:3072                         // 0000000060B8: D86C0C00 CC0000E0
	v_mfma_scale_f32_16x16x128_f8f6f4 a[76:79], v[192:195], v[52:55], a[76:79], v211, v201 op_sel_hi:[0,0,0] cbsz:4 blgp:4// 0000000060C0: D3AC7000 180393D3 D3AD8C4C 853269C0
	s_sub_u32 s18, s18, s62                                    // 0000000060D0: 80923E12
	v_mfma_scale_f32_16x16x128_f8f6f4 a[104:107], v[196:199], v[48:51], a[104:107], v211, v201 op_sel_hi:[0,0,0] cbsz:4 blgp:4// 0000000060D4: D3AC6800 180393D3 D3AD8C68 85A261C4
	ds_read_b32 v205, v224 offset:3328                         // 0000000060E4: D86C0D00 CD0000E0
	v_mfma_scale_f32_16x16x128_f8f6f4 a[108:111], v[196:199], v[52:55], a[108:111], v211, v201 op_sel_hi:[0,0,0] cbsz:4 blgp:4// 0000000060EC: D3AC7800 180393D3 D3AD8C6C 85B269C4
	s_add_u32 s24, s64, s24                                    // 0000000060FC: 80181840
	v_mfma_scale_f32_16x16x128_f8f6f4 a[80:83], v[192:195], v[56:59], a[80:83], v211, v202 op_sel_hi:[0,0,0] cbsz:4 blgp:4// 000000006100: D3AC6000 180395D3 D3AD8C50 854271C0
	ds_read_b32 v206, v224 offset:3584                         // 000000006110: D86C0E00 CE0000E0
	v_mfma_scale_f32_16x16x128_f8f6f4 a[84:87], v[192:195], v[60:63], a[84:87], v211, v202 op_sel_hi:[0,0,0] cbsz:4 blgp:4// 000000006118: D3AC7000 180395D3 D3AD8C54 855279C0
	s_addc_u32 s25, 0, s25                                     // 000000006128: 82191980
	v_mfma_scale_f32_16x16x128_f8f6f4 a[112:115], v[196:199], v[56:59], a[112:115], v211, v202 op_sel_hi:[0,0,0] cbsz:4 blgp:4// 00000000612C: D3AC6800 180395D3 D3AD8C70 85C271C4
	ds_read_b32 v207, v224 offset:3840                         // 00000000613C: D86C0F00 CF0000E0
	v_mfma_scale_f32_16x16x128_f8f6f4 a[116:119], v[196:199], v[60:63], a[116:119], v211, v202 op_sel_hi:[0,0,0] cbsz:4 blgp:4// 000000006144: D3AC7800 180395D3 D3AD8C74 85D279C4
	s_sub_u32 s26, s26, s64                                    // 000000006154: 809A401A
	v_mfma_scale_f32_16x16x128_f8f6f4 a[88:91], v[192:195], v[64:67], a[88:91], v211, v203 op_sel_hi:[0,0,0] cbsz:4 blgp:4// 000000006158: D3AC6000 180397D3 D3AD8C58 856281C0
	v_mfma_scale_f32_16x16x128_f8f6f4 a[92:95], v[192:195], v[68:71], a[92:95], v211, v203 op_sel_hi:[0,0,0] cbsz:4 blgp:4// 000000006168: D3AC7000 180397D3 D3AD8C5C 857289C0
	v_mfma_scale_f32_16x16x128_f8f6f4 a[120:123], v[196:199], v[64:67], a[120:123], v211, v203 op_sel_hi:[0,0,0] cbsz:4 blgp:4// 000000006178: D3AC6800 180397D3 D3AD8C78 85E281C4
	v_mfma_scale_f32_16x16x128_f8f6f4 a[124:127], v[196:199], v[68:71], a[124:127], v211, v203 op_sel_hi:[0,0,0] cbsz:4 blgp:4// 000000006188: D3AC7800 180397D3 D3AD8C7C 85F289C4
	s_waitcnt vmcnt(15) lgkmcnt(0)                             // 000000006198: BF8C007F
	v_mfma_scale_f32_16x16x128_f8f6f4 a[128:131], v[168:171], v[72:75], a[128:131], v210, v204 op_sel_hi:[0,0,0] cbsz:4 blgp:4// 00000000619C: D3AC6000 000399D2 D3AD8C80 860291A8
	s_barrier                                                  // 0000000061AC: BF8A0000
	s_nop 0                                                    // 0000000061B0: BF800000
	v_mfma_scale_f32_16x16x128_f8f6f4 a[132:135], v[168:171], v[76:79], a[132:135], v210, v204 op_sel_hi:[0,0,0] cbsz:4 blgp:4// 0000000061B4: D3AC7000 000399D2 D3AD8C84 861299A8
	ds_read_b128 v[8:11], v220                                 // 0000000061C4: D9FE0000 080000DC
	v_mfma_scale_f32_16x16x128_f8f6f4 a[160:163], v[172:175], v[72:75], a[160:163], v210, v204 op_sel_hi:[0,0,0] cbsz:4 blgp:4// 0000000061CC: D3AC6800 000399D2 D3AD8CA0 868291AC
	s_add_u32 m0, 0x8400, s59                                  // 0000000061DC: 807C3BFF 00008400
	v_mfma_scale_f32_16x16x128_f8f6f4 a[164:167], v[172:175], v[76:79], a[164:167], v210, v204 op_sel_hi:[0,0,0] cbsz:4 blgp:4// 0000000061E4: D3AC7800 000399D2 D3AD8CA4 869299AC
	ds_read_b128 v[40:43], v220 offset:64                      // 0000000061F4: D9FE0040 280000DC
	v_mfma_scale_f32_16x16x128_f8f6f4 a[136:139], v[168:171], v[80:83], a[136:139], v210, v205 op_sel_hi:[0,0,0] cbsz:4 blgp:4// 0000000061FC: D3AC6000 00039BD2 D3AD8C88 8622A1A8
	buffer_load_dwordx4 v212, s[12:15], 0 offen lds            // 00000000620C: E05D1000 800300D4
	v_mfma_scale_f32_16x16x128_f8f6f4 a[140:143], v[168:171], v[84:87], a[140:143], v210, v205 op_sel_hi:[0,0,0] cbsz:4 blgp:4// 000000006214: D3AC7000 00039BD2 D3AD8C8C 8632A9A8
	ds_read_b128 v[12:15], v220 offset:512                     // 000000006224: D9FE0200 0C0000DC
	v_mfma_scale_f32_16x16x128_f8f6f4 a[168:171], v[172:175], v[80:83], a[168:171], v210, v205 op_sel_hi:[0,0,0] cbsz:4 blgp:4// 00000000622C: D3AC6800 00039BD2 D3AD8CA8 86A2A1AC
	s_add_u32 m0, 0x9480, s59                                  // 00000000623C: 807C3BFF 00009480
	v_mfma_scale_f32_16x16x128_f8f6f4 a[172:175], v[172:175], v[84:87], a[172:175], v210, v205 op_sel_hi:[0,0,0] cbsz:4 blgp:4// 000000006244: D3AC7800 00039BD2 D3AD8CAC 86B2A9AC
	ds_read_b128 v[44:47], v220 offset:576                     // 000000006254: D9FE0240 2C0000DC
	v_mfma_scale_f32_16x16x128_f8f6f4 a[144:147], v[168:171], v[88:91], a[144:147], v210, v206 op_sel_hi:[0,0,0] cbsz:4 blgp:4// 00000000625C: D3AC6000 00039DD2 D3AD8C90 8642B1A8
	buffer_load_dwordx4 v213, s[12:15], 0 offen lds            // 00000000626C: E05D1000 800300D5
	v_mfma_scale_f32_16x16x128_f8f6f4 a[148:151], v[168:171], v[92:95], a[148:151], v210, v206 op_sel_hi:[0,0,0] cbsz:4 blgp:4// 000000006274: D3AC7000 00039DD2 D3AD8C94 8652B9A8
	ds_read_b128 v[16:19], v220 offset:4224                    // 000000006284: D9FE1080 100000DC
	v_mfma_scale_f32_16x16x128_f8f6f4 a[176:179], v[172:175], v[88:91], a[176:179], v210, v206 op_sel_hi:[0,0,0] cbsz:4 blgp:4// 00000000628C: D3AC6800 00039DD2 D3AD8CB0 86C2B1AC
	s_add_u32 m0, 0xa500, s59                                  // 00000000629C: 807C3BFF 0000A500
	v_mfma_scale_f32_16x16x128_f8f6f4 a[180:183], v[172:175], v[92:95], a[180:183], v210, v206 op_sel_hi:[0,0,0] cbsz:4 blgp:4// 0000000062A4: D3AC7800 00039DD2 D3AD8CB4 86D2B9AC
	ds_read_b128 v[48:51], v220 offset:4288                    // 0000000062B4: D9FE10C0 300000DC
	v_mfma_scale_f32_16x16x128_f8f6f4 a[152:155], v[168:171], v[96:99], a[152:155], v210, v207 op_sel_hi:[0,0,0] cbsz:4 blgp:4// 0000000062BC: D3AC6000 00039FD2 D3AD8C98 8662C1A8
	buffer_load_dwordx4 v214, s[12:15], 0 offen lds            // 0000000062CC: E05D1000 800300D6
	v_mfma_scale_f32_16x16x128_f8f6f4 a[156:159], v[168:171], v[100:103], a[156:159], v210, v207 op_sel_hi:[0,0,0] cbsz:4 blgp:4// 0000000062D4: D3AC7000 00039FD2 D3AD8C9C 8672C9A8
	ds_read_b128 v[20:23], v220 offset:4736                    // 0000000062E4: D9FE1280 140000DC
	v_mfma_scale_f32_16x16x128_f8f6f4 a[184:187], v[172:175], v[96:99], a[184:187], v210, v207 op_sel_hi:[0,0,0] cbsz:4 blgp:4// 0000000062EC: D3AC6800 00039FD2 D3AD8CB8 86E2C1AC
	s_add_u32 m0, 0xb580, s59                                  // 0000000062FC: 807C3BFF 0000B580
	v_mfma_scale_f32_16x16x128_f8f6f4 a[188:191], v[172:175], v[100:103], a[188:191], v210, v207 op_sel_hi:[0,0,0] cbsz:4 blgp:4// 000000006304: D3AC7800 00039FD2 D3AD8CBC 86F2C9AC
	ds_read_b128 v[52:55], v220 offset:4800                    // 000000006314: D9FE12C0 340000DC
	v_mfma_scale_f32_16x16x128_f8f6f4 a[192:195], v[176:179], v[72:75], a[192:195], v211, v204 op_sel_hi:[0,0,0] cbsz:4 blgp:4// 00000000631C: D3AC6000 000399D3 D3AD8CC0 870291B0
	buffer_load_dwordx4 v215, s[12:15], 0 offen lds            // 00000000632C: E05D1000 800300D7
	v_mfma_scale_f32_16x16x128_f8f6f4 a[196:199], v[176:179], v[76:79], a[196:199], v211, v204 op_sel_hi:[0,0,0] cbsz:4 blgp:4// 000000006334: D3AC7000 000399D3 D3AD8CC4 871299B0
	ds_read_b128 v[24:27], v220 offset:8448                    // 000000006344: D9FE2100 180000DC
	v_mfma_scale_f32_16x16x128_f8f6f4 a[224:227], v[180:183], v[72:75], a[224:227], v211, v204 op_sel_hi:[0,0,0] cbsz:4 blgp:4// 00000000634C: D3AC6800 000399D3 D3AD8CE0 878291B4
	s_add_u32 m0, 0x800, s60                                   // 00000000635C: 807C3CFF 00000800
	v_mfma_scale_f32_16x16x128_f8f6f4 a[228:231], v[180:183], v[76:79], a[228:231], v211, v204 op_sel_hi:[0,0,0] cbsz:4 blgp:4// 000000006364: D3AC7800 000399D3 D3AD8CE4 879299B4
	ds_read_b128 v[56:59], v220 offset:8512                    // 000000006374: D9FE2140 380000DC
	v_mfma_scale_f32_16x16x128_f8f6f4 a[200:203], v[176:179], v[80:83], a[200:203], v211, v205 op_sel_hi:[0,0,0] cbsz:4 blgp:4// 00000000637C: D3AC6000 00039BD3 D3AD8CC8 8722A1B0
	buffer_load_dword v222, s[20:23], 0 offen lds              // 00000000638C: E0511000 800500DE
	v_mfma_scale_f32_16x16x128_f8f6f4 a[204:207], v[176:179], v[84:87], a[204:207], v211, v205 op_sel_hi:[0,0,0] cbsz:4 blgp:4// 000000006394: D3AC7000 00039BD3 D3AD8CCC 8732A9B0
	ds_read_b128 v[28:31], v220 offset:8960                    // 0000000063A4: D9FE2300 1C0000DC
	v_mfma_scale_f32_16x16x128_f8f6f4 a[232:235], v[180:183], v[80:83], a[232:235], v211, v205 op_sel_hi:[0,0,0] cbsz:4 blgp:4// 0000000063AC: D3AC6800 00039BD3 D3AD8CE8 87A2A1B4
	s_add_u32 m0, 0xc600, s59                                  // 0000000063BC: 807C3BFF 0000C600
	v_mfma_scale_f32_16x16x128_f8f6f4 a[236:239], v[180:183], v[84:87], a[236:239], v211, v205 op_sel_hi:[0,0,0] cbsz:4 blgp:4// 0000000063C4: D3AC7800 00039BD3 D3AD8CEC 87B2A9B4
	ds_read_b128 v[60:63], v220 offset:9024                    // 0000000063D4: D9FE2340 3C0000DC
	v_mfma_scale_f32_16x16x128_f8f6f4 a[208:211], v[176:179], v[88:91], a[208:211], v211, v206 op_sel_hi:[0,0,0] cbsz:4 blgp:4// 0000000063DC: D3AC6000 00039DD3 D3AD8CD0 8742B1B0
	buffer_load_dwordx4 v216, s[12:15], 0 offen lds            // 0000000063EC: E05D1000 800300D8
	v_mfma_scale_f32_16x16x128_f8f6f4 a[212:215], v[176:179], v[92:95], a[212:215], v211, v206 op_sel_hi:[0,0,0] cbsz:4 blgp:4// 0000000063F4: D3AC7000 00039DD3 D3AD8CD4 8752B9B0
	ds_read_b128 v[32:35], v220 offset:12672                   // 000000006404: D9FE3180 200000DC
	v_mfma_scale_f32_16x16x128_f8f6f4 a[240:243], v[180:183], v[88:91], a[240:243], v211, v206 op_sel_hi:[0,0,0] cbsz:4 blgp:4// 00000000640C: D3AC6800 00039DD3 D3AD8CF0 87C2B1B4
	s_add_u32 m0, 0xd680, s59                                  // 00000000641C: 807C3BFF 0000D680
	v_mfma_scale_f32_16x16x128_f8f6f4 a[244:247], v[180:183], v[92:95], a[244:247], v211, v206 op_sel_hi:[0,0,0] cbsz:4 blgp:4// 000000006424: D3AC7800 00039DD3 D3AD8CF4 87D2B9B4
	ds_read_b128 v[64:67], v220 offset:12736                   // 000000006434: D9FE31C0 400000DC
	v_mfma_scale_f32_16x16x128_f8f6f4 a[216:219], v[176:179], v[96:99], a[216:219], v211, v207 op_sel_hi:[0,0,0] cbsz:4 blgp:4// 00000000643C: D3AC6000 00039FD3 D3AD8CD8 8762C1B0
	buffer_load_dwordx4 v217, s[12:15], 0 offen lds            // 00000000644C: E05D1000 800300D9
	v_mfma_scale_f32_16x16x128_f8f6f4 a[220:223], v[176:179], v[100:103], a[220:223], v211, v207 op_sel_hi:[0,0,0] cbsz:4 blgp:4// 000000006454: D3AC7000 00039FD3 D3AD8CDC 8772C9B0
	ds_read_b128 v[36:39], v220 offset:13184                   // 000000006464: D9FE3380 240000DC
	v_mfma_scale_f32_16x16x128_f8f6f4 a[248:251], v[180:183], v[96:99], a[248:251], v211, v207 op_sel_hi:[0,0,0] cbsz:4 blgp:4// 00000000646C: D3AC6800 00039FD3 D3AD8CF8 87E2C1B4
	s_add_u32 m0, 0xe700, s59                                  // 00000000647C: 807C3BFF 0000E700
	v_mfma_scale_f32_16x16x128_f8f6f4 a[252:255], v[180:183], v[100:103], a[252:255], v211, v207 op_sel_hi:[0,0,0] cbsz:4 blgp:4// 000000006484: D3AC7800 00039FD3 D3AD8CFC 87F2C9B4
	ds_read_b128 v[68:71], v220 offset:13248                   // 000000006494: D9FE33C0 440000DC
	v_mfma_scale_f32_16x16x128_f8f6f4 a[128:131], v[184:187], v[104:107], a[128:131], v210, v204 op_sel_hi:[0,0,0] cbsz:4 blgp:4// 00000000649C: D3AC6000 180399D2 D3AD8C80 8602D1B8
	buffer_load_dwordx4 v218, s[12:15], 0 offen lds            // 0000000064AC: E05D1000 800300DA
	v_mfma_scale_f32_16x16x128_f8f6f4 a[132:135], v[184:187], v[108:111], a[132:135], v210, v204 op_sel_hi:[0,0,0] cbsz:4 blgp:4// 0000000064B4: D3AC7000 180399D2 D3AD8C84 8612D9B8
	ds_read_b32 v200, v224                                     // 0000000064C4: D86C0000 C80000E0
	v_mfma_scale_f32_16x16x128_f8f6f4 a[160:163], v[188:191], v[104:107], a[160:163], v210, v204 op_sel_hi:[0,0,0] cbsz:4 blgp:4// 0000000064CC: D3AC6800 180399D2 D3AD8CA0 8682D1BC
	s_add_u32 m0, 0xf780, s59                                  // 0000000064DC: 807C3BFF 0000F780
	v_mfma_scale_f32_16x16x128_f8f6f4 a[164:167], v[188:191], v[108:111], a[164:167], v210, v204 op_sel_hi:[0,0,0] cbsz:4 blgp:4// 0000000064E4: D3AC7800 180399D2 D3AD8CA4 8692D9BC
	ds_read_b32 v201, v224 offset:256                          // 0000000064F4: D86C0100 C90000E0
	v_mfma_scale_f32_16x16x128_f8f6f4 a[136:139], v[184:187], v[112:115], a[136:139], v210, v205 op_sel_hi:[0,0,0] cbsz:4 blgp:4// 0000000064FC: D3AC6000 18039BD2 D3AD8C88 8622E1B8
	buffer_load_dwordx4 v219, s[12:15], 0 offen lds            // 00000000650C: E05D1000 800300DB
	v_mfma_scale_f32_16x16x128_f8f6f4 a[140:143], v[184:187], v[116:119], a[140:143], v210, v205 op_sel_hi:[0,0,0] cbsz:4 blgp:4// 000000006514: D3AC7000 18039BD2 D3AD8C8C 8632E9B8
	ds_read_b32 v202, v224 offset:512                          // 000000006524: D86C0200 CA0000E0
	v_mfma_scale_f32_16x16x128_f8f6f4 a[168:171], v[188:191], v[112:115], a[168:171], v210, v205 op_sel_hi:[0,0,0] cbsz:4 blgp:4// 00000000652C: D3AC6800 18039BD2 D3AD8CA8 86A2E1BC
	s_add_u32 m0, 0xc00, s60                                   // 00000000653C: 807C3CFF 00000C00
	v_mfma_scale_f32_16x16x128_f8f6f4 a[172:175], v[188:191], v[116:119], a[172:175], v210, v205 op_sel_hi:[0,0,0] cbsz:4 blgp:4// 000000006544: D3AC7800 18039BD2 D3AD8CAC 86B2E9BC
	ds_read_b32 v203, v224 offset:768                          // 000000006554: D86C0300 CB0000E0
	v_mfma_scale_f32_16x16x128_f8f6f4 a[144:147], v[184:187], v[120:123], a[144:147], v210, v206 op_sel_hi:[0,0,0] cbsz:4 blgp:4// 00000000655C: D3AC6000 18039DD2 D3AD8C90 8642F1B8
	buffer_load_dword v223, s[20:23], 0 offen lds              // 00000000656C: E0511000 800500DF
	v_mfma_scale_f32_16x16x128_f8f6f4 a[148:151], v[184:187], v[124:127], a[148:151], v210, v206 op_sel_hi:[0,0,0] cbsz:4 blgp:4// 000000006574: D3AC7000 18039DD2 D3AD8C94 8652F9B8
	v_mfma_scale_f32_16x16x128_f8f6f4 a[176:179], v[188:191], v[120:123], a[176:179], v210, v206 op_sel_hi:[0,0,0] cbsz:4 blgp:4// 000000006584: D3AC6800 18039DD2 D3AD8CB0 86C2F1BC
	s_add_u32 s52, 0x300, s50                                  // 000000006594: 803432FF 00000300
	v_mfma_scale_f32_16x16x128_f8f6f4 a[180:183], v[188:191], v[124:127], a[180:183], v210, v206 op_sel_hi:[0,0,0] cbsz:4 blgp:4// 00000000659C: D3AC7800 18039DD2 D3AD8CB4 86D2F9BC
	v_mfma_scale_f32_16x16x128_f8f6f4 a[152:155], v[184:187], v[128:131], a[152:155], v210, v207 op_sel_hi:[0,0,0] cbsz:4 blgp:4// 0000000065AC: D3AC6000 18039FD2 D3AD8C98 866301B8
	s_cmp_lt_u32 s52, s51                                      // 0000000065BC: BF0A3334
	v_mfma_scale_f32_16x16x128_f8f6f4 a[156:159], v[184:187], v[132:135], a[156:159], v210, v207 op_sel_hi:[0,0,0] cbsz:4 blgp:4// 0000000065C0: D3AC7000 18039FD2 D3AD8C9C 867309B8
	v_mfma_scale_f32_16x16x128_f8f6f4 a[184:187], v[188:191], v[128:131], a[184:187], v210, v207 op_sel_hi:[0,0,0] cbsz:4 blgp:4// 0000000065D0: D3AC6800 18039FD2 D3AD8CB8 86E301BC
	s_cselect_b32 s61, s61, 0                                  // 0000000065E0: 853D803D
	v_mfma_scale_f32_16x16x128_f8f6f4 a[188:191], v[188:191], v[132:135], a[188:191], v210, v207 op_sel_hi:[0,0,0] cbsz:4 blgp:4// 0000000065E4: D3AC7800 18039FD2 D3AD8CBC 86F309BC
	v_mfma_scale_f32_16x16x128_f8f6f4 a[192:195], v[192:195], v[104:107], a[192:195], v211, v204 op_sel_hi:[0,0,0] cbsz:4 blgp:4// 0000000065F4: D3AC6000 180399D3 D3AD8CC0 8702D1C0
	s_cselect_b32 s63, s63, 0                                  // 000000006604: 853F803F
	v_mfma_scale_f32_16x16x128_f8f6f4 a[196:199], v[192:195], v[108:111], a[196:199], v211, v204 op_sel_hi:[0,0,0] cbsz:4 blgp:4// 000000006608: D3AC7000 180399D3 D3AD8CC4 8712D9C0
	v_mfma_scale_f32_16x16x128_f8f6f4 a[224:227], v[196:199], v[104:107], a[224:227], v211, v204 op_sel_hi:[0,0,0] cbsz:4 blgp:4// 000000006618: D3AC6800 180399D3 D3AD8CE0 8782D1C4
	s_add_u32 s12, s61, s12                                    // 000000006628: 800C0C3D
	v_mfma_scale_f32_16x16x128_f8f6f4 a[228:231], v[196:199], v[108:111], a[228:231], v211, v204 op_sel_hi:[0,0,0] cbsz:4 blgp:4// 00000000662C: D3AC7800 180399D3 D3AD8CE4 8792D9C4
	v_mfma_scale_f32_16x16x128_f8f6f4 a[200:203], v[192:195], v[112:115], a[200:203], v211, v205 op_sel_hi:[0,0,0] cbsz:4 blgp:4// 00000000663C: D3AC6000 18039BD3 D3AD8CC8 8722E1C0
	s_addc_u32 s13, 0, s13                                     // 00000000664C: 820D0D80
	v_mfma_scale_f32_16x16x128_f8f6f4 a[204:207], v[192:195], v[116:119], a[204:207], v211, v205 op_sel_hi:[0,0,0] cbsz:4 blgp:4// 000000006650: D3AC7000 18039BD3 D3AD8CCC 8732E9C0
	v_mfma_scale_f32_16x16x128_f8f6f4 a[232:235], v[196:199], v[112:115], a[232:235], v211, v205 op_sel_hi:[0,0,0] cbsz:4 blgp:4// 000000006660: D3AC6800 18039BD3 D3AD8CE8 87A2E1C4
	s_sub_u32 s14, s14, s61                                    // 000000006670: 808E3D0E
	v_mfma_scale_f32_16x16x128_f8f6f4 a[236:239], v[196:199], v[116:119], a[236:239], v211, v205 op_sel_hi:[0,0,0] cbsz:4 blgp:4// 000000006674: D3AC7800 18039BD3 D3AD8CEC 87B2E9C4
	v_mfma_scale_f32_16x16x128_f8f6f4 a[208:211], v[192:195], v[120:123], a[208:211], v211, v206 op_sel_hi:[0,0,0] cbsz:4 blgp:4// 000000006684: D3AC6000 18039DD3 D3AD8CD0 8742F1C0
	s_add_u32 s20, s63, s20                                    // 000000006694: 8014143F
	v_mfma_scale_f32_16x16x128_f8f6f4 a[212:215], v[192:195], v[124:127], a[212:215], v211, v206 op_sel_hi:[0,0,0] cbsz:4 blgp:4// 000000006698: D3AC7000 18039DD3 D3AD8CD4 8752F9C0
	v_mfma_scale_f32_16x16x128_f8f6f4 a[240:243], v[196:199], v[120:123], a[240:243], v211, v206 op_sel_hi:[0,0,0] cbsz:4 blgp:4// 0000000066A8: D3AC6800 18039DD3 D3AD8CF0 87C2F1C4
	s_addc_u32 s21, 0, s21                                     // 0000000066B8: 82151580
	v_mfma_scale_f32_16x16x128_f8f6f4 a[244:247], v[196:199], v[124:127], a[244:247], v211, v206 op_sel_hi:[0,0,0] cbsz:4 blgp:4// 0000000066BC: D3AC7800 18039DD3 D3AD8CF4 87D2F9C4
	v_mfma_scale_f32_16x16x128_f8f6f4 a[216:219], v[192:195], v[128:131], a[216:219], v211, v207 op_sel_hi:[0,0,0] cbsz:4 blgp:4// 0000000066CC: D3AC6000 18039FD3 D3AD8CD8 876301C0
	s_addk_i32 s50, 0x100                                      // 0000000066DC: B7320100
	v_mfma_scale_f32_16x16x128_f8f6f4 a[220:223], v[192:195], v[132:135], a[220:223], v211, v207 op_sel_hi:[0,0,0] cbsz:4 blgp:4// 0000000066E0: D3AC7000 18039FD3 D3AD8CDC 877309C0
	s_cmp_lt_i32 s50, s51                                      // 0000000066F0: BF043332
	v_mfma_scale_f32_16x16x128_f8f6f4 a[248:251], v[196:199], v[128:131], a[248:251], v211, v207 op_sel_hi:[0,0,0] cbsz:4 blgp:4// 0000000066F4: D3AC6800 18039FD3 D3AD8CF8 87E301C4
	v_mfma_scale_f32_16x16x128_f8f6f4 a[252:255], v[196:199], v[132:135], a[252:255], v211, v207 op_sel_hi:[0,0,0] cbsz:4 blgp:4// 000000006704: D3AC7800 18039FD3 D3AD8CFC 87F309C4
	s_cbranch_scc0 label_0EC7                                  // 000000006714: BF840001
	s_branch label_0972                                        // 000000006718: BF82FAAB

000000000000671c <label_0EC7>:
	s_waitcnt vmcnt(0) lgkmcnt(0)                              // 00000000671C: BF8C0070
	s_barrier                                                  // 000000006720: BF8A0000
	s_cmp_eq_u32 s57, 0                                        // 000000006724: BF068039
	s_cbranch_scc1 label_14AC                                  // 000000006728: BF8505E1
	v_accvgpr_read_b32 v8, a0                                  // 00000000672C: D3D84008 18000100
	v_mul_f32_e32 v8, s38, v8                                  // 000000006734: 0A101026
	v_accvgpr_read_b32 v9, a1                                  // 000000006738: D3D84009 18000101
	v_mul_f32_e32 v9, s38, v9                                  // 000000006740: 0A121226
	v_accvgpr_read_b32 v10, a2                                 // 000000006744: D3D8400A 18000102
	v_mul_f32_e32 v10, s38, v10                                // 00000000674C: 0A141426
	v_accvgpr_read_b32 v11, a3                                 // 000000006750: D3D8400B 18000103
	v_mul_f32_e32 v11, s38, v11                                // 000000006758: 0A161626
	v_accvgpr_read_b32 v12, a32                                // 00000000675C: D3D8400C 18000120
	v_mul_f32_e32 v12, s38, v12                                // 000000006764: 0A181826
	v_accvgpr_read_b32 v13, a33                                // 000000006768: D3D8400D 18000121
	v_mul_f32_e32 v13, s38, v13                                // 000000006770: 0A1A1A26
	v_accvgpr_read_b32 v14, a34                                // 000000006774: D3D8400E 18000122
	v_mul_f32_e32 v14, s38, v14                                // 00000000677C: 0A1C1C26
	v_accvgpr_read_b32 v15, a35                                // 000000006780: D3D8400F 18000123
	v_mul_f32_e32 v15, s38, v15                                // 000000006788: 0A1E1E26
	v_cvt_pk_bf16_f32 v16, v8, v9                              // 00000000678C: D2680010 00021308
	v_cvt_pk_bf16_f32 v17, v10, v11                            // 000000006794: D2680011 0002170A
	v_cvt_pk_bf16_f32 v18, v12, v13                            // 00000000679C: D2680012 00021B0C
	v_cvt_pk_bf16_f32 v19, v14, v15                            // 0000000067A4: D2680013 00021F0E
	s_nop 1                                                    // 0000000067AC: BF800001
	v_permlane16_swap_b32_e32 v16, v18                         // 0000000067B0: 7E20B312
	s_nop 1                                                    // 0000000067B4: BF800001
	v_permlane16_swap_b32_e32 v17, v19                         // 0000000067B8: 7E22B313
	s_nop 1                                                    // 0000000067BC: BF800001
	buffer_atomic_pk_add_bf16 v16, v235, s[4:7], 0 offen       // 0000000067C0: E1481000 800110EB
	buffer_atomic_pk_add_bf16 v17, v235, s[4:7], 0 offen offset:4// 0000000067C8: E1481004 800111EB
	buffer_atomic_pk_add_bf16 v18, v235, s[4:7], 0 offen offset:8// 0000000067D0: E1481008 800112EB
	buffer_atomic_pk_add_bf16 v19, v235, s[4:7], 0 offen offset:12// 0000000067D8: E148100C 800113EB
	v_add_i32 v235, v235, 64                                   // 0000000067E0: D29C00EB 000181EB
	v_accvgpr_read_b32 v8, a64                                 // 0000000067E8: D3D84008 18000140
	v_mul_f32_e32 v8, s38, v8                                  // 0000000067F0: 0A101026
	v_accvgpr_read_b32 v9, a65                                 // 0000000067F4: D3D84009 18000141
	v_mul_f32_e32 v9, s38, v9                                  // 0000000067FC: 0A121226
	v_accvgpr_read_b32 v10, a66                                // 000000006800: D3D8400A 18000142
	v_mul_f32_e32 v10, s38, v10                                // 000000006808: 0A141426
	v_accvgpr_read_b32 v11, a67                                // 00000000680C: D3D8400B 18000143
	v_mul_f32_e32 v11, s38, v11                                // 000000006814: 0A161626
	v_accvgpr_read_b32 v12, a96                                // 000000006818: D3D8400C 18000160
	v_mul_f32_e32 v12, s38, v12                                // 000000006820: 0A181826
	v_accvgpr_read_b32 v13, a97                                // 000000006824: D3D8400D 18000161
	v_mul_f32_e32 v13, s38, v13                                // 00000000682C: 0A1A1A26
	v_accvgpr_read_b32 v14, a98                                // 000000006830: D3D8400E 18000162
	v_mul_f32_e32 v14, s38, v14                                // 000000006838: 0A1C1C26
	v_accvgpr_read_b32 v15, a99                                // 00000000683C: D3D8400F 18000163
	v_mul_f32_e32 v15, s38, v15                                // 000000006844: 0A1E1E26
	v_cvt_pk_bf16_f32 v16, v8, v9                              // 000000006848: D2680010 00021308
	v_cvt_pk_bf16_f32 v17, v10, v11                            // 000000006850: D2680011 0002170A
	v_cvt_pk_bf16_f32 v18, v12, v13                            // 000000006858: D2680012 00021B0C
	v_cvt_pk_bf16_f32 v19, v14, v15                            // 000000006860: D2680013 00021F0E
	s_nop 1                                                    // 000000006868: BF800001
	v_permlane16_swap_b32_e32 v16, v18                         // 00000000686C: 7E20B312
	s_nop 1                                                    // 000000006870: BF800001
	v_permlane16_swap_b32_e32 v17, v19                         // 000000006874: 7E22B313
	s_nop 1                                                    // 000000006878: BF800001
	buffer_atomic_pk_add_bf16 v16, v235, s[4:7], 0 offen       // 00000000687C: E1481000 800110EB
	buffer_atomic_pk_add_bf16 v17, v235, s[4:7], 0 offen offset:4// 000000006884: E1481004 800111EB
	buffer_atomic_pk_add_bf16 v18, v235, s[4:7], 0 offen offset:8// 00000000688C: E1481008 800112EB
	buffer_atomic_pk_add_bf16 v19, v235, s[4:7], 0 offen offset:12// 000000006894: E148100C 800113EB
	v_add_i32 v235, v235, 64                                   // 00000000689C: D29C00EB 000181EB
	v_accvgpr_read_b32 v8, a4                                  // 0000000068A4: D3D84008 18000104
	v_mul_f32_e32 v8, s38, v8                                  // 0000000068AC: 0A101026
	v_accvgpr_read_b32 v9, a5                                  // 0000000068B0: D3D84009 18000105
	v_mul_f32_e32 v9, s38, v9                                  // 0000000068B8: 0A121226
	v_accvgpr_read_b32 v10, a6                                 // 0000000068BC: D3D8400A 18000106
	v_mul_f32_e32 v10, s38, v10                                // 0000000068C4: 0A141426
	v_accvgpr_read_b32 v11, a7                                 // 0000000068C8: D3D8400B 18000107
	v_mul_f32_e32 v11, s38, v11                                // 0000000068D0: 0A161626
	v_accvgpr_read_b32 v12, a36                                // 0000000068D4: D3D8400C 18000124
	v_mul_f32_e32 v12, s38, v12                                // 0000000068DC: 0A181826
	v_accvgpr_read_b32 v13, a37                                // 0000000068E0: D3D8400D 18000125
	v_mul_f32_e32 v13, s38, v13                                // 0000000068E8: 0A1A1A26
	v_accvgpr_read_b32 v14, a38                                // 0000000068EC: D3D8400E 18000126
	v_mul_f32_e32 v14, s38, v14                                // 0000000068F4: 0A1C1C26
	v_accvgpr_read_b32 v15, a39                                // 0000000068F8: D3D8400F 18000127
	v_mul_f32_e32 v15, s38, v15                                // 000000006900: 0A1E1E26
	v_cvt_pk_bf16_f32 v16, v8, v9                              // 000000006904: D2680010 00021308
	v_cvt_pk_bf16_f32 v17, v10, v11                            // 00000000690C: D2680011 0002170A
	v_cvt_pk_bf16_f32 v18, v12, v13                            // 000000006914: D2680012 00021B0C
	v_cvt_pk_bf16_f32 v19, v14, v15                            // 00000000691C: D2680013 00021F0E
	s_nop 1                                                    // 000000006924: BF800001
	v_permlane16_swap_b32_e32 v16, v18                         // 000000006928: 7E20B312
	s_nop 1                                                    // 00000000692C: BF800001
	v_permlane16_swap_b32_e32 v17, v19                         // 000000006930: 7E22B313
	s_nop 1                                                    // 000000006934: BF800001
	buffer_atomic_pk_add_bf16 v16, v236, s[4:7], 0 offen       // 000000006938: E1481000 800110EC
	buffer_atomic_pk_add_bf16 v17, v236, s[4:7], 0 offen offset:4// 000000006940: E1481004 800111EC
	buffer_atomic_pk_add_bf16 v18, v236, s[4:7], 0 offen offset:8// 000000006948: E1481008 800112EC
	buffer_atomic_pk_add_bf16 v19, v236, s[4:7], 0 offen offset:12// 000000006950: E148100C 800113EC
	v_add_i32 v236, v236, 64                                   // 000000006958: D29C00EC 000181EC
	v_accvgpr_read_b32 v8, a68                                 // 000000006960: D3D84008 18000144
	v_mul_f32_e32 v8, s38, v8                                  // 000000006968: 0A101026
	v_accvgpr_read_b32 v9, a69                                 // 00000000696C: D3D84009 18000145
	v_mul_f32_e32 v9, s38, v9                                  // 000000006974: 0A121226
	v_accvgpr_read_b32 v10, a70                                // 000000006978: D3D8400A 18000146
	v_mul_f32_e32 v10, s38, v10                                // 000000006980: 0A141426
	v_accvgpr_read_b32 v11, a71                                // 000000006984: D3D8400B 18000147
	v_mul_f32_e32 v11, s38, v11                                // 00000000698C: 0A161626
	v_accvgpr_read_b32 v12, a100                               // 000000006990: D3D8400C 18000164
	v_mul_f32_e32 v12, s38, v12                                // 000000006998: 0A181826
	v_accvgpr_read_b32 v13, a101                               // 00000000699C: D3D8400D 18000165
	v_mul_f32_e32 v13, s38, v13                                // 0000000069A4: 0A1A1A26
	v_accvgpr_read_b32 v14, a102                               // 0000000069A8: D3D8400E 18000166
	v_mul_f32_e32 v14, s38, v14                                // 0000000069B0: 0A1C1C26
	v_accvgpr_read_b32 v15, a103                               // 0000000069B4: D3D8400F 18000167
	v_mul_f32_e32 v15, s38, v15                                // 0000000069BC: 0A1E1E26
	v_cvt_pk_bf16_f32 v16, v8, v9                              // 0000000069C0: D2680010 00021308
	v_cvt_pk_bf16_f32 v17, v10, v11                            // 0000000069C8: D2680011 0002170A
	v_cvt_pk_bf16_f32 v18, v12, v13                            // 0000000069D0: D2680012 00021B0C
	v_cvt_pk_bf16_f32 v19, v14, v15                            // 0000000069D8: D2680013 00021F0E
	s_nop 1                                                    // 0000000069E0: BF800001
	v_permlane16_swap_b32_e32 v16, v18                         // 0000000069E4: 7E20B312
	s_nop 1                                                    // 0000000069E8: BF800001
	v_permlane16_swap_b32_e32 v17, v19                         // 0000000069EC: 7E22B313
	s_nop 1                                                    // 0000000069F0: BF800001
	buffer_atomic_pk_add_bf16 v16, v236, s[4:7], 0 offen       // 0000000069F4: E1481000 800110EC
	buffer_atomic_pk_add_bf16 v17, v236, s[4:7], 0 offen offset:4// 0000000069FC: E1481004 800111EC
	buffer_atomic_pk_add_bf16 v18, v236, s[4:7], 0 offen offset:8// 000000006A04: E1481008 800112EC
	buffer_atomic_pk_add_bf16 v19, v236, s[4:7], 0 offen offset:12// 000000006A0C: E148100C 800113EC
	v_add_i32 v236, v236, 64                                   // 000000006A14: D29C00EC 000181EC
	v_accvgpr_read_b32 v8, a8                                  // 000000006A1C: D3D84008 18000108
	v_mul_f32_e32 v8, s38, v8                                  // 000000006A24: 0A101026
	v_accvgpr_read_b32 v9, a9                                  // 000000006A28: D3D84009 18000109
	v_mul_f32_e32 v9, s38, v9                                  // 000000006A30: 0A121226
	v_accvgpr_read_b32 v10, a10                                // 000000006A34: D3D8400A 1800010A
	v_mul_f32_e32 v10, s38, v10                                // 000000006A3C: 0A141426
	v_accvgpr_read_b32 v11, a11                                // 000000006A40: D3D8400B 1800010B
	v_mul_f32_e32 v11, s38, v11                                // 000000006A48: 0A161626
	v_accvgpr_read_b32 v12, a40                                // 000000006A4C: D3D8400C 18000128
	v_mul_f32_e32 v12, s38, v12                                // 000000006A54: 0A181826
	v_accvgpr_read_b32 v13, a41                                // 000000006A58: D3D8400D 18000129
	v_mul_f32_e32 v13, s38, v13                                // 000000006A60: 0A1A1A26
	v_accvgpr_read_b32 v14, a42                                // 000000006A64: D3D8400E 1800012A
	v_mul_f32_e32 v14, s38, v14                                // 000000006A6C: 0A1C1C26
	v_accvgpr_read_b32 v15, a43                                // 000000006A70: D3D8400F 1800012B
	v_mul_f32_e32 v15, s38, v15                                // 000000006A78: 0A1E1E26
	v_cvt_pk_bf16_f32 v16, v8, v9                              // 000000006A7C: D2680010 00021308
	v_cvt_pk_bf16_f32 v17, v10, v11                            // 000000006A84: D2680011 0002170A
	v_cvt_pk_bf16_f32 v18, v12, v13                            // 000000006A8C: D2680012 00021B0C
	v_cvt_pk_bf16_f32 v19, v14, v15                            // 000000006A94: D2680013 00021F0E
	s_nop 1                                                    // 000000006A9C: BF800001
	v_permlane16_swap_b32_e32 v16, v18                         // 000000006AA0: 7E20B312
	s_nop 1                                                    // 000000006AA4: BF800001
	v_permlane16_swap_b32_e32 v17, v19                         // 000000006AA8: 7E22B313
	s_nop 1                                                    // 000000006AAC: BF800001
	buffer_atomic_pk_add_bf16 v16, v237, s[4:7], 0 offen       // 000000006AB0: E1481000 800110ED
	buffer_atomic_pk_add_bf16 v17, v237, s[4:7], 0 offen offset:4// 000000006AB8: E1481004 800111ED
	buffer_atomic_pk_add_bf16 v18, v237, s[4:7], 0 offen offset:8// 000000006AC0: E1481008 800112ED
	buffer_atomic_pk_add_bf16 v19, v237, s[4:7], 0 offen offset:12// 000000006AC8: E148100C 800113ED
	v_add_i32 v237, v237, 64                                   // 000000006AD0: D29C00ED 000181ED
	v_accvgpr_read_b32 v8, a72                                 // 000000006AD8: D3D84008 18000148
	v_mul_f32_e32 v8, s38, v8                                  // 000000006AE0: 0A101026
	v_accvgpr_read_b32 v9, a73                                 // 000000006AE4: D3D84009 18000149
	v_mul_f32_e32 v9, s38, v9                                  // 000000006AEC: 0A121226
	v_accvgpr_read_b32 v10, a74                                // 000000006AF0: D3D8400A 1800014A
	v_mul_f32_e32 v10, s38, v10                                // 000000006AF8: 0A141426
	v_accvgpr_read_b32 v11, a75                                // 000000006AFC: D3D8400B 1800014B
	v_mul_f32_e32 v11, s38, v11                                // 000000006B04: 0A161626
	v_accvgpr_read_b32 v12, a104                               // 000000006B08: D3D8400C 18000168
	v_mul_f32_e32 v12, s38, v12                                // 000000006B10: 0A181826
	v_accvgpr_read_b32 v13, a105                               // 000000006B14: D3D8400D 18000169
	v_mul_f32_e32 v13, s38, v13                                // 000000006B1C: 0A1A1A26
	v_accvgpr_read_b32 v14, a106                               // 000000006B20: D3D8400E 1800016A
	v_mul_f32_e32 v14, s38, v14                                // 000000006B28: 0A1C1C26
	v_accvgpr_read_b32 v15, a107                               // 000000006B2C: D3D8400F 1800016B
	v_mul_f32_e32 v15, s38, v15                                // 000000006B34: 0A1E1E26
	v_cvt_pk_bf16_f32 v16, v8, v9                              // 000000006B38: D2680010 00021308
	v_cvt_pk_bf16_f32 v17, v10, v11                            // 000000006B40: D2680011 0002170A
	v_cvt_pk_bf16_f32 v18, v12, v13                            // 000000006B48: D2680012 00021B0C
	v_cvt_pk_bf16_f32 v19, v14, v15                            // 000000006B50: D2680013 00021F0E
	s_nop 1                                                    // 000000006B58: BF800001
	v_permlane16_swap_b32_e32 v16, v18                         // 000000006B5C: 7E20B312
	s_nop 1                                                    // 000000006B60: BF800001
	v_permlane16_swap_b32_e32 v17, v19                         // 000000006B64: 7E22B313
	s_nop 1                                                    // 000000006B68: BF800001
	buffer_atomic_pk_add_bf16 v16, v237, s[4:7], 0 offen       // 000000006B6C: E1481000 800110ED
	buffer_atomic_pk_add_bf16 v17, v237, s[4:7], 0 offen offset:4// 000000006B74: E1481004 800111ED
	buffer_atomic_pk_add_bf16 v18, v237, s[4:7], 0 offen offset:8// 000000006B7C: E1481008 800112ED
	buffer_atomic_pk_add_bf16 v19, v237, s[4:7], 0 offen offset:12// 000000006B84: E148100C 800113ED
	v_add_i32 v237, v237, 64                                   // 000000006B8C: D29C00ED 000181ED
	v_accvgpr_read_b32 v8, a12                                 // 000000006B94: D3D84008 1800010C
	v_mul_f32_e32 v8, s38, v8                                  // 000000006B9C: 0A101026
	v_accvgpr_read_b32 v9, a13                                 // 000000006BA0: D3D84009 1800010D
	v_mul_f32_e32 v9, s38, v9                                  // 000000006BA8: 0A121226
	v_accvgpr_read_b32 v10, a14                                // 000000006BAC: D3D8400A 1800010E
	v_mul_f32_e32 v10, s38, v10                                // 000000006BB4: 0A141426
	v_accvgpr_read_b32 v11, a15                                // 000000006BB8: D3D8400B 1800010F
	v_mul_f32_e32 v11, s38, v11                                // 000000006BC0: 0A161626
	v_accvgpr_read_b32 v12, a44                                // 000000006BC4: D3D8400C 1800012C
	v_mul_f32_e32 v12, s38, v12                                // 000000006BCC: 0A181826
	v_accvgpr_read_b32 v13, a45                                // 000000006BD0: D3D8400D 1800012D
	v_mul_f32_e32 v13, s38, v13                                // 000000006BD8: 0A1A1A26
	v_accvgpr_read_b32 v14, a46                                // 000000006BDC: D3D8400E 1800012E
	v_mul_f32_e32 v14, s38, v14                                // 000000006BE4: 0A1C1C26
	v_accvgpr_read_b32 v15, a47                                // 000000006BE8: D3D8400F 1800012F
	v_mul_f32_e32 v15, s38, v15                                // 000000006BF0: 0A1E1E26
	v_cvt_pk_bf16_f32 v16, v8, v9                              // 000000006BF4: D2680010 00021308
	v_cvt_pk_bf16_f32 v17, v10, v11                            // 000000006BFC: D2680011 0002170A
	v_cvt_pk_bf16_f32 v18, v12, v13                            // 000000006C04: D2680012 00021B0C
	v_cvt_pk_bf16_f32 v19, v14, v15                            // 000000006C0C: D2680013 00021F0E
	s_nop 1                                                    // 000000006C14: BF800001
	v_permlane16_swap_b32_e32 v16, v18                         // 000000006C18: 7E20B312
	s_nop 1                                                    // 000000006C1C: BF800001
	v_permlane16_swap_b32_e32 v17, v19                         // 000000006C20: 7E22B313
	s_nop 1                                                    // 000000006C24: BF800001
	buffer_atomic_pk_add_bf16 v16, v238, s[4:7], 0 offen       // 000000006C28: E1481000 800110EE
	buffer_atomic_pk_add_bf16 v17, v238, s[4:7], 0 offen offset:4// 000000006C30: E1481004 800111EE
	buffer_atomic_pk_add_bf16 v18, v238, s[4:7], 0 offen offset:8// 000000006C38: E1481008 800112EE
	buffer_atomic_pk_add_bf16 v19, v238, s[4:7], 0 offen offset:12// 000000006C40: E148100C 800113EE
	v_add_i32 v238, v238, 64                                   // 000000006C48: D29C00EE 000181EE
	v_accvgpr_read_b32 v8, a76                                 // 000000006C50: D3D84008 1800014C
	v_mul_f32_e32 v8, s38, v8                                  // 000000006C58: 0A101026
	v_accvgpr_read_b32 v9, a77                                 // 000000006C5C: D3D84009 1800014D
	v_mul_f32_e32 v9, s38, v9                                  // 000000006C64: 0A121226
	v_accvgpr_read_b32 v10, a78                                // 000000006C68: D3D8400A 1800014E
	v_mul_f32_e32 v10, s38, v10                                // 000000006C70: 0A141426
	v_accvgpr_read_b32 v11, a79                                // 000000006C74: D3D8400B 1800014F
	v_mul_f32_e32 v11, s38, v11                                // 000000006C7C: 0A161626
	v_accvgpr_read_b32 v12, a108                               // 000000006C80: D3D8400C 1800016C
	v_mul_f32_e32 v12, s38, v12                                // 000000006C88: 0A181826
	v_accvgpr_read_b32 v13, a109                               // 000000006C8C: D3D8400D 1800016D
	v_mul_f32_e32 v13, s38, v13                                // 000000006C94: 0A1A1A26
	v_accvgpr_read_b32 v14, a110                               // 000000006C98: D3D8400E 1800016E
	v_mul_f32_e32 v14, s38, v14                                // 000000006CA0: 0A1C1C26
	v_accvgpr_read_b32 v15, a111                               // 000000006CA4: D3D8400F 1800016F
	v_mul_f32_e32 v15, s38, v15                                // 000000006CAC: 0A1E1E26
	v_cvt_pk_bf16_f32 v16, v8, v9                              // 000000006CB0: D2680010 00021308
	v_cvt_pk_bf16_f32 v17, v10, v11                            // 000000006CB8: D2680011 0002170A
	v_cvt_pk_bf16_f32 v18, v12, v13                            // 000000006CC0: D2680012 00021B0C
	v_cvt_pk_bf16_f32 v19, v14, v15                            // 000000006CC8: D2680013 00021F0E
	s_nop 1                                                    // 000000006CD0: BF800001
	v_permlane16_swap_b32_e32 v16, v18                         // 000000006CD4: 7E20B312
	s_nop 1                                                    // 000000006CD8: BF800001
	v_permlane16_swap_b32_e32 v17, v19                         // 000000006CDC: 7E22B313
	s_nop 1                                                    // 000000006CE0: BF800001
	buffer_atomic_pk_add_bf16 v16, v238, s[4:7], 0 offen       // 000000006CE4: E1481000 800110EE
	buffer_atomic_pk_add_bf16 v17, v238, s[4:7], 0 offen offset:4// 000000006CEC: E1481004 800111EE
	buffer_atomic_pk_add_bf16 v18, v238, s[4:7], 0 offen offset:8// 000000006CF4: E1481008 800112EE
	buffer_atomic_pk_add_bf16 v19, v238, s[4:7], 0 offen offset:12// 000000006CFC: E148100C 800113EE
	v_add_i32 v238, v238, 64                                   // 000000006D04: D29C00EE 000181EE
	v_accvgpr_read_b32 v8, a16                                 // 000000006D0C: D3D84008 18000110
	v_mul_f32_e32 v8, s38, v8                                  // 000000006D14: 0A101026
	v_accvgpr_read_b32 v9, a17                                 // 000000006D18: D3D84009 18000111
	v_mul_f32_e32 v9, s38, v9                                  // 000000006D20: 0A121226
	v_accvgpr_read_b32 v10, a18                                // 000000006D24: D3D8400A 18000112
	v_mul_f32_e32 v10, s38, v10                                // 000000006D2C: 0A141426
	v_accvgpr_read_b32 v11, a19                                // 000000006D30: D3D8400B 18000113
	v_mul_f32_e32 v11, s38, v11                                // 000000006D38: 0A161626
	v_accvgpr_read_b32 v12, a48                                // 000000006D3C: D3D8400C 18000130
	v_mul_f32_e32 v12, s38, v12                                // 000000006D44: 0A181826
	v_accvgpr_read_b32 v13, a49                                // 000000006D48: D3D8400D 18000131
	v_mul_f32_e32 v13, s38, v13                                // 000000006D50: 0A1A1A26
	v_accvgpr_read_b32 v14, a50                                // 000000006D54: D3D8400E 18000132
	v_mul_f32_e32 v14, s38, v14                                // 000000006D5C: 0A1C1C26
	v_accvgpr_read_b32 v15, a51                                // 000000006D60: D3D8400F 18000133
	v_mul_f32_e32 v15, s38, v15                                // 000000006D68: 0A1E1E26
	v_cvt_pk_bf16_f32 v16, v8, v9                              // 000000006D6C: D2680010 00021308
	v_cvt_pk_bf16_f32 v17, v10, v11                            // 000000006D74: D2680011 0002170A
	v_cvt_pk_bf16_f32 v18, v12, v13                            // 000000006D7C: D2680012 00021B0C
	v_cvt_pk_bf16_f32 v19, v14, v15                            // 000000006D84: D2680013 00021F0E
	s_nop 1                                                    // 000000006D8C: BF800001
	v_permlane16_swap_b32_e32 v16, v18                         // 000000006D90: 7E20B312
	s_nop 1                                                    // 000000006D94: BF800001
	v_permlane16_swap_b32_e32 v17, v19                         // 000000006D98: 7E22B313
	s_nop 1                                                    // 000000006D9C: BF800001
	buffer_atomic_pk_add_bf16 v16, v239, s[4:7], 0 offen       // 000000006DA0: E1481000 800110EF
	buffer_atomic_pk_add_bf16 v17, v239, s[4:7], 0 offen offset:4// 000000006DA8: E1481004 800111EF
	buffer_atomic_pk_add_bf16 v18, v239, s[4:7], 0 offen offset:8// 000000006DB0: E1481008 800112EF
	buffer_atomic_pk_add_bf16 v19, v239, s[4:7], 0 offen offset:12// 000000006DB8: E148100C 800113EF
	v_add_i32 v239, v239, 64                                   // 000000006DC0: D29C00EF 000181EF
	v_accvgpr_read_b32 v8, a80                                 // 000000006DC8: D3D84008 18000150
	v_mul_f32_e32 v8, s38, v8                                  // 000000006DD0: 0A101026
	v_accvgpr_read_b32 v9, a81                                 // 000000006DD4: D3D84009 18000151
	v_mul_f32_e32 v9, s38, v9                                  // 000000006DDC: 0A121226
	v_accvgpr_read_b32 v10, a82                                // 000000006DE0: D3D8400A 18000152
	v_mul_f32_e32 v10, s38, v10                                // 000000006DE8: 0A141426
	v_accvgpr_read_b32 v11, a83                                // 000000006DEC: D3D8400B 18000153
	v_mul_f32_e32 v11, s38, v11                                // 000000006DF4: 0A161626
	v_accvgpr_read_b32 v12, a112                               // 000000006DF8: D3D8400C 18000170
	v_mul_f32_e32 v12, s38, v12                                // 000000006E00: 0A181826
	v_accvgpr_read_b32 v13, a113                               // 000000006E04: D3D8400D 18000171
	v_mul_f32_e32 v13, s38, v13                                // 000000006E0C: 0A1A1A26
	v_accvgpr_read_b32 v14, a114                               // 000000006E10: D3D8400E 18000172
	v_mul_f32_e32 v14, s38, v14                                // 000000006E18: 0A1C1C26
	v_accvgpr_read_b32 v15, a115                               // 000000006E1C: D3D8400F 18000173
	v_mul_f32_e32 v15, s38, v15                                // 000000006E24: 0A1E1E26
	v_cvt_pk_bf16_f32 v16, v8, v9                              // 000000006E28: D2680010 00021308
	v_cvt_pk_bf16_f32 v17, v10, v11                            // 000000006E30: D2680011 0002170A
	v_cvt_pk_bf16_f32 v18, v12, v13                            // 000000006E38: D2680012 00021B0C
	v_cvt_pk_bf16_f32 v19, v14, v15                            // 000000006E40: D2680013 00021F0E
	s_nop 1                                                    // 000000006E48: BF800001
	v_permlane16_swap_b32_e32 v16, v18                         // 000000006E4C: 7E20B312
	s_nop 1                                                    // 000000006E50: BF800001
	v_permlane16_swap_b32_e32 v17, v19                         // 000000006E54: 7E22B313
	s_nop 1                                                    // 000000006E58: BF800001
	buffer_atomic_pk_add_bf16 v16, v239, s[4:7], 0 offen       // 000000006E5C: E1481000 800110EF
	buffer_atomic_pk_add_bf16 v17, v239, s[4:7], 0 offen offset:4// 000000006E64: E1481004 800111EF
	buffer_atomic_pk_add_bf16 v18, v239, s[4:7], 0 offen offset:8// 000000006E6C: E1481008 800112EF
	buffer_atomic_pk_add_bf16 v19, v239, s[4:7], 0 offen offset:12// 000000006E74: E148100C 800113EF
	v_add_i32 v239, v239, 64                                   // 000000006E7C: D29C00EF 000181EF
	v_accvgpr_read_b32 v8, a20                                 // 000000006E84: D3D84008 18000114
	v_mul_f32_e32 v8, s38, v8                                  // 000000006E8C: 0A101026
	v_accvgpr_read_b32 v9, a21                                 // 000000006E90: D3D84009 18000115
	v_mul_f32_e32 v9, s38, v9                                  // 000000006E98: 0A121226
	v_accvgpr_read_b32 v10, a22                                // 000000006E9C: D3D8400A 18000116
	v_mul_f32_e32 v10, s38, v10                                // 000000006EA4: 0A141426
	v_accvgpr_read_b32 v11, a23                                // 000000006EA8: D3D8400B 18000117
	v_mul_f32_e32 v11, s38, v11                                // 000000006EB0: 0A161626
	v_accvgpr_read_b32 v12, a52                                // 000000006EB4: D3D8400C 18000134
	v_mul_f32_e32 v12, s38, v12                                // 000000006EBC: 0A181826
	v_accvgpr_read_b32 v13, a53                                // 000000006EC0: D3D8400D 18000135
	v_mul_f32_e32 v13, s38, v13                                // 000000006EC8: 0A1A1A26
	v_accvgpr_read_b32 v14, a54                                // 000000006ECC: D3D8400E 18000136
	v_mul_f32_e32 v14, s38, v14                                // 000000006ED4: 0A1C1C26
	v_accvgpr_read_b32 v15, a55                                // 000000006ED8: D3D8400F 18000137
	v_mul_f32_e32 v15, s38, v15                                // 000000006EE0: 0A1E1E26
	v_cvt_pk_bf16_f32 v16, v8, v9                              // 000000006EE4: D2680010 00021308
	v_cvt_pk_bf16_f32 v17, v10, v11                            // 000000006EEC: D2680011 0002170A
	v_cvt_pk_bf16_f32 v18, v12, v13                            // 000000006EF4: D2680012 00021B0C
	v_cvt_pk_bf16_f32 v19, v14, v15                            // 000000006EFC: D2680013 00021F0E
	s_nop 1                                                    // 000000006F04: BF800001
	v_permlane16_swap_b32_e32 v16, v18                         // 000000006F08: 7E20B312
	s_nop 1                                                    // 000000006F0C: BF800001
	v_permlane16_swap_b32_e32 v17, v19                         // 000000006F10: 7E22B313
	s_nop 1                                                    // 000000006F14: BF800001
	buffer_atomic_pk_add_bf16 v16, v240, s[4:7], 0 offen       // 000000006F18: E1481000 800110F0
	buffer_atomic_pk_add_bf16 v17, v240, s[4:7], 0 offen offset:4// 000000006F20: E1481004 800111F0
	buffer_atomic_pk_add_bf16 v18, v240, s[4:7], 0 offen offset:8// 000000006F28: E1481008 800112F0
	buffer_atomic_pk_add_bf16 v19, v240, s[4:7], 0 offen offset:12// 000000006F30: E148100C 800113F0
	v_add_i32 v240, v240, 64                                   // 000000006F38: D29C00F0 000181F0
	v_accvgpr_read_b32 v8, a84                                 // 000000006F40: D3D84008 18000154
	v_mul_f32_e32 v8, s38, v8                                  // 000000006F48: 0A101026
	v_accvgpr_read_b32 v9, a85                                 // 000000006F4C: D3D84009 18000155
	v_mul_f32_e32 v9, s38, v9                                  // 000000006F54: 0A121226
	v_accvgpr_read_b32 v10, a86                                // 000000006F58: D3D8400A 18000156
	v_mul_f32_e32 v10, s38, v10                                // 000000006F60: 0A141426
	v_accvgpr_read_b32 v11, a87                                // 000000006F64: D3D8400B 18000157
	v_mul_f32_e32 v11, s38, v11                                // 000000006F6C: 0A161626
	v_accvgpr_read_b32 v12, a116                               // 000000006F70: D3D8400C 18000174
	v_mul_f32_e32 v12, s38, v12                                // 000000006F78: 0A181826
	v_accvgpr_read_b32 v13, a117                               // 000000006F7C: D3D8400D 18000175
	v_mul_f32_e32 v13, s38, v13                                // 000000006F84: 0A1A1A26
	v_accvgpr_read_b32 v14, a118                               // 000000006F88: D3D8400E 18000176
	v_mul_f32_e32 v14, s38, v14                                // 000000006F90: 0A1C1C26
	v_accvgpr_read_b32 v15, a119                               // 000000006F94: D3D8400F 18000177
	v_mul_f32_e32 v15, s38, v15                                // 000000006F9C: 0A1E1E26
	v_cvt_pk_bf16_f32 v16, v8, v9                              // 000000006FA0: D2680010 00021308
	v_cvt_pk_bf16_f32 v17, v10, v11                            // 000000006FA8: D2680011 0002170A
	v_cvt_pk_bf16_f32 v18, v12, v13                            // 000000006FB0: D2680012 00021B0C
	v_cvt_pk_bf16_f32 v19, v14, v15                            // 000000006FB8: D2680013 00021F0E
	s_nop 1                                                    // 000000006FC0: BF800001
	v_permlane16_swap_b32_e32 v16, v18                         // 000000006FC4: 7E20B312
	s_nop 1                                                    // 000000006FC8: BF800001
	v_permlane16_swap_b32_e32 v17, v19                         // 000000006FCC: 7E22B313
	s_nop 1                                                    // 000000006FD0: BF800001
	buffer_atomic_pk_add_bf16 v16, v240, s[4:7], 0 offen       // 000000006FD4: E1481000 800110F0
	buffer_atomic_pk_add_bf16 v17, v240, s[4:7], 0 offen offset:4// 000000006FDC: E1481004 800111F0
	buffer_atomic_pk_add_bf16 v18, v240, s[4:7], 0 offen offset:8// 000000006FE4: E1481008 800112F0
	buffer_atomic_pk_add_bf16 v19, v240, s[4:7], 0 offen offset:12// 000000006FEC: E148100C 800113F0
	v_add_i32 v240, v240, 64                                   // 000000006FF4: D29C00F0 000181F0
	v_accvgpr_read_b32 v8, a24                                 // 000000006FFC: D3D84008 18000118
	v_mul_f32_e32 v8, s38, v8                                  // 000000007004: 0A101026
	v_accvgpr_read_b32 v9, a25                                 // 000000007008: D3D84009 18000119
	v_mul_f32_e32 v9, s38, v9                                  // 000000007010: 0A121226
	v_accvgpr_read_b32 v10, a26                                // 000000007014: D3D8400A 1800011A
	v_mul_f32_e32 v10, s38, v10                                // 00000000701C: 0A141426
	v_accvgpr_read_b32 v11, a27                                // 000000007020: D3D8400B 1800011B
	v_mul_f32_e32 v11, s38, v11                                // 000000007028: 0A161626
	v_accvgpr_read_b32 v12, a56                                // 00000000702C: D3D8400C 18000138
	v_mul_f32_e32 v12, s38, v12                                // 000000007034: 0A181826
	v_accvgpr_read_b32 v13, a57                                // 000000007038: D3D8400D 18000139
	v_mul_f32_e32 v13, s38, v13                                // 000000007040: 0A1A1A26
	v_accvgpr_read_b32 v14, a58                                // 000000007044: D3D8400E 1800013A
	v_mul_f32_e32 v14, s38, v14                                // 00000000704C: 0A1C1C26
	v_accvgpr_read_b32 v15, a59                                // 000000007050: D3D8400F 1800013B
	v_mul_f32_e32 v15, s38, v15                                // 000000007058: 0A1E1E26
	v_cvt_pk_bf16_f32 v16, v8, v9                              // 00000000705C: D2680010 00021308
	v_cvt_pk_bf16_f32 v17, v10, v11                            // 000000007064: D2680011 0002170A
	v_cvt_pk_bf16_f32 v18, v12, v13                            // 00000000706C: D2680012 00021B0C
	v_cvt_pk_bf16_f32 v19, v14, v15                            // 000000007074: D2680013 00021F0E
	s_nop 1                                                    // 00000000707C: BF800001
	v_permlane16_swap_b32_e32 v16, v18                         // 000000007080: 7E20B312
	s_nop 1                                                    // 000000007084: BF800001
	v_permlane16_swap_b32_e32 v17, v19                         // 000000007088: 7E22B313
	s_nop 1                                                    // 00000000708C: BF800001
	buffer_atomic_pk_add_bf16 v16, v241, s[4:7], 0 offen       // 000000007090: E1481000 800110F1
	buffer_atomic_pk_add_bf16 v17, v241, s[4:7], 0 offen offset:4// 000000007098: E1481004 800111F1
	buffer_atomic_pk_add_bf16 v18, v241, s[4:7], 0 offen offset:8// 0000000070A0: E1481008 800112F1
	buffer_atomic_pk_add_bf16 v19, v241, s[4:7], 0 offen offset:12// 0000000070A8: E148100C 800113F1
	v_add_i32 v241, v241, 64                                   // 0000000070B0: D29C00F1 000181F1
	v_accvgpr_read_b32 v8, a88                                 // 0000000070B8: D3D84008 18000158
	v_mul_f32_e32 v8, s38, v8                                  // 0000000070C0: 0A101026
	v_accvgpr_read_b32 v9, a89                                 // 0000000070C4: D3D84009 18000159
	v_mul_f32_e32 v9, s38, v9                                  // 0000000070CC: 0A121226
	v_accvgpr_read_b32 v10, a90                                // 0000000070D0: D3D8400A 1800015A
	v_mul_f32_e32 v10, s38, v10                                // 0000000070D8: 0A141426
	v_accvgpr_read_b32 v11, a91                                // 0000000070DC: D3D8400B 1800015B
	v_mul_f32_e32 v11, s38, v11                                // 0000000070E4: 0A161626
	v_accvgpr_read_b32 v12, a120                               // 0000000070E8: D3D8400C 18000178
	v_mul_f32_e32 v12, s38, v12                                // 0000000070F0: 0A181826
	v_accvgpr_read_b32 v13, a121                               // 0000000070F4: D3D8400D 18000179
	v_mul_f32_e32 v13, s38, v13                                // 0000000070FC: 0A1A1A26
	v_accvgpr_read_b32 v14, a122                               // 000000007100: D3D8400E 1800017A
	v_mul_f32_e32 v14, s38, v14                                // 000000007108: 0A1C1C26
	v_accvgpr_read_b32 v15, a123                               // 00000000710C: D3D8400F 1800017B
	v_mul_f32_e32 v15, s38, v15                                // 000000007114: 0A1E1E26
	v_cvt_pk_bf16_f32 v16, v8, v9                              // 000000007118: D2680010 00021308
	v_cvt_pk_bf16_f32 v17, v10, v11                            // 000000007120: D2680011 0002170A
	v_cvt_pk_bf16_f32 v18, v12, v13                            // 000000007128: D2680012 00021B0C
	v_cvt_pk_bf16_f32 v19, v14, v15                            // 000000007130: D2680013 00021F0E
	s_nop 1                                                    // 000000007138: BF800001
	v_permlane16_swap_b32_e32 v16, v18                         // 00000000713C: 7E20B312
	s_nop 1                                                    // 000000007140: BF800001
	v_permlane16_swap_b32_e32 v17, v19                         // 000000007144: 7E22B313
	s_nop 1                                                    // 000000007148: BF800001
	buffer_atomic_pk_add_bf16 v16, v241, s[4:7], 0 offen       // 00000000714C: E1481000 800110F1
	buffer_atomic_pk_add_bf16 v17, v241, s[4:7], 0 offen offset:4// 000000007154: E1481004 800111F1
	buffer_atomic_pk_add_bf16 v18, v241, s[4:7], 0 offen offset:8// 00000000715C: E1481008 800112F1
	buffer_atomic_pk_add_bf16 v19, v241, s[4:7], 0 offen offset:12// 000000007164: E148100C 800113F1
	v_add_i32 v241, v241, 64                                   // 00000000716C: D29C00F1 000181F1
	v_accvgpr_read_b32 v8, a28                                 // 000000007174: D3D84008 1800011C
	v_mul_f32_e32 v8, s38, v8                                  // 00000000717C: 0A101026
	v_accvgpr_read_b32 v9, a29                                 // 000000007180: D3D84009 1800011D
	v_mul_f32_e32 v9, s38, v9                                  // 000000007188: 0A121226
	v_accvgpr_read_b32 v10, a30                                // 00000000718C: D3D8400A 1800011E
	v_mul_f32_e32 v10, s38, v10                                // 000000007194: 0A141426
	v_accvgpr_read_b32 v11, a31                                // 000000007198: D3D8400B 1800011F
	v_mul_f32_e32 v11, s38, v11                                // 0000000071A0: 0A161626
	v_accvgpr_read_b32 v12, a60                                // 0000000071A4: D3D8400C 1800013C
	v_mul_f32_e32 v12, s38, v12                                // 0000000071AC: 0A181826
	v_accvgpr_read_b32 v13, a61                                // 0000000071B0: D3D8400D 1800013D
	v_mul_f32_e32 v13, s38, v13                                // 0000000071B8: 0A1A1A26
	v_accvgpr_read_b32 v14, a62                                // 0000000071BC: D3D8400E 1800013E
	v_mul_f32_e32 v14, s38, v14                                // 0000000071C4: 0A1C1C26
	v_accvgpr_read_b32 v15, a63                                // 0000000071C8: D3D8400F 1800013F
	v_mul_f32_e32 v15, s38, v15                                // 0000000071D0: 0A1E1E26
	v_cvt_pk_bf16_f32 v16, v8, v9                              // 0000000071D4: D2680010 00021308
	v_cvt_pk_bf16_f32 v17, v10, v11                            // 0000000071DC: D2680011 0002170A
	v_cvt_pk_bf16_f32 v18, v12, v13                            // 0000000071E4: D2680012 00021B0C
	v_cvt_pk_bf16_f32 v19, v14, v15                            // 0000000071EC: D2680013 00021F0E
	s_nop 1                                                    // 0000000071F4: BF800001
	v_permlane16_swap_b32_e32 v16, v18                         // 0000000071F8: 7E20B312
	s_nop 1                                                    // 0000000071FC: BF800001
	v_permlane16_swap_b32_e32 v17, v19                         // 000000007200: 7E22B313
	s_nop 1                                                    // 000000007204: BF800001
	buffer_atomic_pk_add_bf16 v16, v242, s[4:7], 0 offen       // 000000007208: E1481000 800110F2
	buffer_atomic_pk_add_bf16 v17, v242, s[4:7], 0 offen offset:4// 000000007210: E1481004 800111F2
	buffer_atomic_pk_add_bf16 v18, v242, s[4:7], 0 offen offset:8// 000000007218: E1481008 800112F2
	buffer_atomic_pk_add_bf16 v19, v242, s[4:7], 0 offen offset:12// 000000007220: E148100C 800113F2
	v_add_i32 v242, v242, 64                                   // 000000007228: D29C00F2 000181F2
	v_accvgpr_read_b32 v8, a92                                 // 000000007230: D3D84008 1800015C
	v_mul_f32_e32 v8, s38, v8                                  // 000000007238: 0A101026
	v_accvgpr_read_b32 v9, a93                                 // 00000000723C: D3D84009 1800015D
	v_mul_f32_e32 v9, s38, v9                                  // 000000007244: 0A121226
	v_accvgpr_read_b32 v10, a94                                // 000000007248: D3D8400A 1800015E
	v_mul_f32_e32 v10, s38, v10                                // 000000007250: 0A141426
	v_accvgpr_read_b32 v11, a95                                // 000000007254: D3D8400B 1800015F
	v_mul_f32_e32 v11, s38, v11                                // 00000000725C: 0A161626
	v_accvgpr_read_b32 v12, a124                               // 000000007260: D3D8400C 1800017C
	v_mul_f32_e32 v12, s38, v12                                // 000000007268: 0A181826
	v_accvgpr_read_b32 v13, a125                               // 00000000726C: D3D8400D 1800017D
	v_mul_f32_e32 v13, s38, v13                                // 000000007274: 0A1A1A26
	v_accvgpr_read_b32 v14, a126                               // 000000007278: D3D8400E 1800017E
	v_mul_f32_e32 v14, s38, v14                                // 000000007280: 0A1C1C26
	v_accvgpr_read_b32 v15, a127                               // 000000007284: D3D8400F 1800017F
	v_mul_f32_e32 v15, s38, v15                                // 00000000728C: 0A1E1E26
	v_cvt_pk_bf16_f32 v16, v8, v9                              // 000000007290: D2680010 00021308
	v_cvt_pk_bf16_f32 v17, v10, v11                            // 000000007298: D2680011 0002170A
	v_cvt_pk_bf16_f32 v18, v12, v13                            // 0000000072A0: D2680012 00021B0C
	v_cvt_pk_bf16_f32 v19, v14, v15                            // 0000000072A8: D2680013 00021F0E
	s_nop 1                                                    // 0000000072B0: BF800001
	v_permlane16_swap_b32_e32 v16, v18                         // 0000000072B4: 7E20B312
	s_nop 1                                                    // 0000000072B8: BF800001
	v_permlane16_swap_b32_e32 v17, v19                         // 0000000072BC: 7E22B313
	s_nop 1                                                    // 0000000072C0: BF800001
	buffer_atomic_pk_add_bf16 v16, v242, s[4:7], 0 offen       // 0000000072C4: E1481000 800110F2
	buffer_atomic_pk_add_bf16 v17, v242, s[4:7], 0 offen offset:4// 0000000072CC: E1481004 800111F2
	buffer_atomic_pk_add_bf16 v18, v242, s[4:7], 0 offen offset:8// 0000000072D4: E1481008 800112F2
	buffer_atomic_pk_add_bf16 v19, v242, s[4:7], 0 offen offset:12// 0000000072DC: E148100C 800113F2
	v_add_i32 v242, v242, 64                                   // 0000000072E4: D29C00F2 000181F2
	v_accvgpr_read_b32 v8, a128                                // 0000000072EC: D3D84008 18000180
	v_mul_f32_e32 v8, s38, v8                                  // 0000000072F4: 0A101026
	v_accvgpr_read_b32 v9, a129                                // 0000000072F8: D3D84009 18000181
	v_mul_f32_e32 v9, s38, v9                                  // 000000007300: 0A121226
	v_accvgpr_read_b32 v10, a130                               // 000000007304: D3D8400A 18000182
	v_mul_f32_e32 v10, s38, v10                                // 00000000730C: 0A141426
	v_accvgpr_read_b32 v11, a131                               // 000000007310: D3D8400B 18000183
	v_mul_f32_e32 v11, s38, v11                                // 000000007318: 0A161626
	v_accvgpr_read_b32 v12, a160                               // 00000000731C: D3D8400C 180001A0
	v_mul_f32_e32 v12, s38, v12                                // 000000007324: 0A181826
	v_accvgpr_read_b32 v13, a161                               // 000000007328: D3D8400D 180001A1
	v_mul_f32_e32 v13, s38, v13                                // 000000007330: 0A1A1A26
	v_accvgpr_read_b32 v14, a162                               // 000000007334: D3D8400E 180001A2
	v_mul_f32_e32 v14, s38, v14                                // 00000000733C: 0A1C1C26
	v_accvgpr_read_b32 v15, a163                               // 000000007340: D3D8400F 180001A3
	v_mul_f32_e32 v15, s38, v15                                // 000000007348: 0A1E1E26
	v_cvt_pk_bf16_f32 v16, v8, v9                              // 00000000734C: D2680010 00021308
	v_cvt_pk_bf16_f32 v17, v10, v11                            // 000000007354: D2680011 0002170A
	v_cvt_pk_bf16_f32 v18, v12, v13                            // 00000000735C: D2680012 00021B0C
	v_cvt_pk_bf16_f32 v19, v14, v15                            // 000000007364: D2680013 00021F0E
	s_nop 1                                                    // 00000000736C: BF800001
	v_permlane16_swap_b32_e32 v16, v18                         // 000000007370: 7E20B312
	s_nop 1                                                    // 000000007374: BF800001
	v_permlane16_swap_b32_e32 v17, v19                         // 000000007378: 7E22B313
	s_nop 1                                                    // 00000000737C: BF800001
	buffer_atomic_pk_add_bf16 v16, v243, s[4:7], 0 offen       // 000000007380: E1481000 800110F3
	buffer_atomic_pk_add_bf16 v17, v243, s[4:7], 0 offen offset:4// 000000007388: E1481004 800111F3
	buffer_atomic_pk_add_bf16 v18, v243, s[4:7], 0 offen offset:8// 000000007390: E1481008 800112F3
	buffer_atomic_pk_add_bf16 v19, v243, s[4:7], 0 offen offset:12// 000000007398: E148100C 800113F3
	v_add_i32 v243, v243, 64                                   // 0000000073A0: D29C00F3 000181F3
	v_accvgpr_read_b32 v8, a192                                // 0000000073A8: D3D84008 180001C0
	v_mul_f32_e32 v8, s38, v8                                  // 0000000073B0: 0A101026
	v_accvgpr_read_b32 v9, a193                                // 0000000073B4: D3D84009 180001C1
	v_mul_f32_e32 v9, s38, v9                                  // 0000000073BC: 0A121226
	v_accvgpr_read_b32 v10, a194                               // 0000000073C0: D3D8400A 180001C2
	v_mul_f32_e32 v10, s38, v10                                // 0000000073C8: 0A141426
	v_accvgpr_read_b32 v11, a195                               // 0000000073CC: D3D8400B 180001C3
	v_mul_f32_e32 v11, s38, v11                                // 0000000073D4: 0A161626
	v_accvgpr_read_b32 v12, a224                               // 0000000073D8: D3D8400C 180001E0
	v_mul_f32_e32 v12, s38, v12                                // 0000000073E0: 0A181826
	v_accvgpr_read_b32 v13, a225                               // 0000000073E4: D3D8400D 180001E1
	v_mul_f32_e32 v13, s38, v13                                // 0000000073EC: 0A1A1A26
	v_accvgpr_read_b32 v14, a226                               // 0000000073F0: D3D8400E 180001E2
	v_mul_f32_e32 v14, s38, v14                                // 0000000073F8: 0A1C1C26
	v_accvgpr_read_b32 v15, a227                               // 0000000073FC: D3D8400F 180001E3
	v_mul_f32_e32 v15, s38, v15                                // 000000007404: 0A1E1E26
	v_cvt_pk_bf16_f32 v16, v8, v9                              // 000000007408: D2680010 00021308
	v_cvt_pk_bf16_f32 v17, v10, v11                            // 000000007410: D2680011 0002170A
	v_cvt_pk_bf16_f32 v18, v12, v13                            // 000000007418: D2680012 00021B0C
	v_cvt_pk_bf16_f32 v19, v14, v15                            // 000000007420: D2680013 00021F0E
	s_nop 1                                                    // 000000007428: BF800001
	v_permlane16_swap_b32_e32 v16, v18                         // 00000000742C: 7E20B312
	s_nop 1                                                    // 000000007430: BF800001
	v_permlane16_swap_b32_e32 v17, v19                         // 000000007434: 7E22B313
	s_nop 1                                                    // 000000007438: BF800001
	buffer_atomic_pk_add_bf16 v16, v243, s[4:7], 0 offen       // 00000000743C: E1481000 800110F3
	buffer_atomic_pk_add_bf16 v17, v243, s[4:7], 0 offen offset:4// 000000007444: E1481004 800111F3
	buffer_atomic_pk_add_bf16 v18, v243, s[4:7], 0 offen offset:8// 00000000744C: E1481008 800112F3
	buffer_atomic_pk_add_bf16 v19, v243, s[4:7], 0 offen offset:12// 000000007454: E148100C 800113F3
	v_add_i32 v243, v243, 64                                   // 00000000745C: D29C00F3 000181F3
	v_accvgpr_read_b32 v8, a132                                // 000000007464: D3D84008 18000184
	v_mul_f32_e32 v8, s38, v8                                  // 00000000746C: 0A101026
	v_accvgpr_read_b32 v9, a133                                // 000000007470: D3D84009 18000185
	v_mul_f32_e32 v9, s38, v9                                  // 000000007478: 0A121226
	v_accvgpr_read_b32 v10, a134                               // 00000000747C: D3D8400A 18000186
	v_mul_f32_e32 v10, s38, v10                                // 000000007484: 0A141426
	v_accvgpr_read_b32 v11, a135                               // 000000007488: D3D8400B 18000187
	v_mul_f32_e32 v11, s38, v11                                // 000000007490: 0A161626
	v_accvgpr_read_b32 v12, a164                               // 000000007494: D3D8400C 180001A4
	v_mul_f32_e32 v12, s38, v12                                // 00000000749C: 0A181826
	v_accvgpr_read_b32 v13, a165                               // 0000000074A0: D3D8400D 180001A5
	v_mul_f32_e32 v13, s38, v13                                // 0000000074A8: 0A1A1A26
	v_accvgpr_read_b32 v14, a166                               // 0000000074AC: D3D8400E 180001A6
	v_mul_f32_e32 v14, s38, v14                                // 0000000074B4: 0A1C1C26
	v_accvgpr_read_b32 v15, a167                               // 0000000074B8: D3D8400F 180001A7
	v_mul_f32_e32 v15, s38, v15                                // 0000000074C0: 0A1E1E26
	v_cvt_pk_bf16_f32 v16, v8, v9                              // 0000000074C4: D2680010 00021308
	v_cvt_pk_bf16_f32 v17, v10, v11                            // 0000000074CC: D2680011 0002170A
	v_cvt_pk_bf16_f32 v18, v12, v13                            // 0000000074D4: D2680012 00021B0C
	v_cvt_pk_bf16_f32 v19, v14, v15                            // 0000000074DC: D2680013 00021F0E
	s_nop 1                                                    // 0000000074E4: BF800001
	v_permlane16_swap_b32_e32 v16, v18                         // 0000000074E8: 7E20B312
	s_nop 1                                                    // 0000000074EC: BF800001
	v_permlane16_swap_b32_e32 v17, v19                         // 0000000074F0: 7E22B313
	s_nop 1                                                    // 0000000074F4: BF800001
	buffer_atomic_pk_add_bf16 v16, v244, s[4:7], 0 offen       // 0000000074F8: E1481000 800110F4
	buffer_atomic_pk_add_bf16 v17, v244, s[4:7], 0 offen offset:4// 000000007500: E1481004 800111F4
	buffer_atomic_pk_add_bf16 v18, v244, s[4:7], 0 offen offset:8// 000000007508: E1481008 800112F4
	buffer_atomic_pk_add_bf16 v19, v244, s[4:7], 0 offen offset:12// 000000007510: E148100C 800113F4
	v_add_i32 v244, v244, 64                                   // 000000007518: D29C00F4 000181F4
	v_accvgpr_read_b32 v8, a196                                // 000000007520: D3D84008 180001C4
	v_mul_f32_e32 v8, s38, v8                                  // 000000007528: 0A101026
	v_accvgpr_read_b32 v9, a197                                // 00000000752C: D3D84009 180001C5
	v_mul_f32_e32 v9, s38, v9                                  // 000000007534: 0A121226
	v_accvgpr_read_b32 v10, a198                               // 000000007538: D3D8400A 180001C6
	v_mul_f32_e32 v10, s38, v10                                // 000000007540: 0A141426
	v_accvgpr_read_b32 v11, a199                               // 000000007544: D3D8400B 180001C7
	v_mul_f32_e32 v11, s38, v11                                // 00000000754C: 0A161626
	v_accvgpr_read_b32 v12, a228                               // 000000007550: D3D8400C 180001E4
	v_mul_f32_e32 v12, s38, v12                                // 000000007558: 0A181826
	v_accvgpr_read_b32 v13, a229                               // 00000000755C: D3D8400D 180001E5
	v_mul_f32_e32 v13, s38, v13                                // 000000007564: 0A1A1A26
	v_accvgpr_read_b32 v14, a230                               // 000000007568: D3D8400E 180001E6
	v_mul_f32_e32 v14, s38, v14                                // 000000007570: 0A1C1C26
	v_accvgpr_read_b32 v15, a231                               // 000000007574: D3D8400F 180001E7
	v_mul_f32_e32 v15, s38, v15                                // 00000000757C: 0A1E1E26
	v_cvt_pk_bf16_f32 v16, v8, v9                              // 000000007580: D2680010 00021308
	v_cvt_pk_bf16_f32 v17, v10, v11                            // 000000007588: D2680011 0002170A
	v_cvt_pk_bf16_f32 v18, v12, v13                            // 000000007590: D2680012 00021B0C
	v_cvt_pk_bf16_f32 v19, v14, v15                            // 000000007598: D2680013 00021F0E
	s_nop 1                                                    // 0000000075A0: BF800001
	v_permlane16_swap_b32_e32 v16, v18                         // 0000000075A4: 7E20B312
	s_nop 1                                                    // 0000000075A8: BF800001
	v_permlane16_swap_b32_e32 v17, v19                         // 0000000075AC: 7E22B313
	s_nop 1                                                    // 0000000075B0: BF800001
	buffer_atomic_pk_add_bf16 v16, v244, s[4:7], 0 offen       // 0000000075B4: E1481000 800110F4
	buffer_atomic_pk_add_bf16 v17, v244, s[4:7], 0 offen offset:4// 0000000075BC: E1481004 800111F4
	buffer_atomic_pk_add_bf16 v18, v244, s[4:7], 0 offen offset:8// 0000000075C4: E1481008 800112F4
	buffer_atomic_pk_add_bf16 v19, v244, s[4:7], 0 offen offset:12// 0000000075CC: E148100C 800113F4
	v_add_i32 v244, v244, 64                                   // 0000000075D4: D29C00F4 000181F4
	v_accvgpr_read_b32 v8, a136                                // 0000000075DC: D3D84008 18000188
	v_mul_f32_e32 v8, s38, v8                                  // 0000000075E4: 0A101026
	v_accvgpr_read_b32 v9, a137                                // 0000000075E8: D3D84009 18000189
	v_mul_f32_e32 v9, s38, v9                                  // 0000000075F0: 0A121226
	v_accvgpr_read_b32 v10, a138                               // 0000000075F4: D3D8400A 1800018A
	v_mul_f32_e32 v10, s38, v10                                // 0000000075FC: 0A141426
	v_accvgpr_read_b32 v11, a139                               // 000000007600: D3D8400B 1800018B
	v_mul_f32_e32 v11, s38, v11                                // 000000007608: 0A161626
	v_accvgpr_read_b32 v12, a168                               // 00000000760C: D3D8400C 180001A8
	v_mul_f32_e32 v12, s38, v12                                // 000000007614: 0A181826
	v_accvgpr_read_b32 v13, a169                               // 000000007618: D3D8400D 180001A9
	v_mul_f32_e32 v13, s38, v13                                // 000000007620: 0A1A1A26
	v_accvgpr_read_b32 v14, a170                               // 000000007624: D3D8400E 180001AA
	v_mul_f32_e32 v14, s38, v14                                // 00000000762C: 0A1C1C26
	v_accvgpr_read_b32 v15, a171                               // 000000007630: D3D8400F 180001AB
	v_mul_f32_e32 v15, s38, v15                                // 000000007638: 0A1E1E26
	v_cvt_pk_bf16_f32 v16, v8, v9                              // 00000000763C: D2680010 00021308
	v_cvt_pk_bf16_f32 v17, v10, v11                            // 000000007644: D2680011 0002170A
	v_cvt_pk_bf16_f32 v18, v12, v13                            // 00000000764C: D2680012 00021B0C
	v_cvt_pk_bf16_f32 v19, v14, v15                            // 000000007654: D2680013 00021F0E
	s_nop 1                                                    // 00000000765C: BF800001
	v_permlane16_swap_b32_e32 v16, v18                         // 000000007660: 7E20B312
	s_nop 1                                                    // 000000007664: BF800001
	v_permlane16_swap_b32_e32 v17, v19                         // 000000007668: 7E22B313
	s_nop 1                                                    // 00000000766C: BF800001
	buffer_atomic_pk_add_bf16 v16, v245, s[4:7], 0 offen       // 000000007670: E1481000 800110F5
	buffer_atomic_pk_add_bf16 v17, v245, s[4:7], 0 offen offset:4// 000000007678: E1481004 800111F5
	buffer_atomic_pk_add_bf16 v18, v245, s[4:7], 0 offen offset:8// 000000007680: E1481008 800112F5
	buffer_atomic_pk_add_bf16 v19, v245, s[4:7], 0 offen offset:12// 000000007688: E148100C 800113F5
	v_add_i32 v245, v245, 64                                   // 000000007690: D29C00F5 000181F5
	v_accvgpr_read_b32 v8, a200                                // 000000007698: D3D84008 180001C8
	v_mul_f32_e32 v8, s38, v8                                  // 0000000076A0: 0A101026
	v_accvgpr_read_b32 v9, a201                                // 0000000076A4: D3D84009 180001C9
	v_mul_f32_e32 v9, s38, v9                                  // 0000000076AC: 0A121226
	v_accvgpr_read_b32 v10, a202                               // 0000000076B0: D3D8400A 180001CA
	v_mul_f32_e32 v10, s38, v10                                // 0000000076B8: 0A141426
	v_accvgpr_read_b32 v11, a203                               // 0000000076BC: D3D8400B 180001CB
	v_mul_f32_e32 v11, s38, v11                                // 0000000076C4: 0A161626
	v_accvgpr_read_b32 v12, a232                               // 0000000076C8: D3D8400C 180001E8
	v_mul_f32_e32 v12, s38, v12                                // 0000000076D0: 0A181826
	v_accvgpr_read_b32 v13, a233                               // 0000000076D4: D3D8400D 180001E9
	v_mul_f32_e32 v13, s38, v13                                // 0000000076DC: 0A1A1A26
	v_accvgpr_read_b32 v14, a234                               // 0000000076E0: D3D8400E 180001EA
	v_mul_f32_e32 v14, s38, v14                                // 0000000076E8: 0A1C1C26
	v_accvgpr_read_b32 v15, a235                               // 0000000076EC: D3D8400F 180001EB
	v_mul_f32_e32 v15, s38, v15                                // 0000000076F4: 0A1E1E26
	v_cvt_pk_bf16_f32 v16, v8, v9                              // 0000000076F8: D2680010 00021308
	v_cvt_pk_bf16_f32 v17, v10, v11                            // 000000007700: D2680011 0002170A
	v_cvt_pk_bf16_f32 v18, v12, v13                            // 000000007708: D2680012 00021B0C
	v_cvt_pk_bf16_f32 v19, v14, v15                            // 000000007710: D2680013 00021F0E
	s_nop 1                                                    // 000000007718: BF800001
	v_permlane16_swap_b32_e32 v16, v18                         // 00000000771C: 7E20B312
	s_nop 1                                                    // 000000007720: BF800001
	v_permlane16_swap_b32_e32 v17, v19                         // 000000007724: 7E22B313
	s_nop 1                                                    // 000000007728: BF800001
	buffer_atomic_pk_add_bf16 v16, v245, s[4:7], 0 offen       // 00000000772C: E1481000 800110F5
	buffer_atomic_pk_add_bf16 v17, v245, s[4:7], 0 offen offset:4// 000000007734: E1481004 800111F5
	buffer_atomic_pk_add_bf16 v18, v245, s[4:7], 0 offen offset:8// 00000000773C: E1481008 800112F5
	buffer_atomic_pk_add_bf16 v19, v245, s[4:7], 0 offen offset:12// 000000007744: E148100C 800113F5
	v_add_i32 v245, v245, 64                                   // 00000000774C: D29C00F5 000181F5
	v_accvgpr_read_b32 v8, a140                                // 000000007754: D3D84008 1800018C
	v_mul_f32_e32 v8, s38, v8                                  // 00000000775C: 0A101026
	v_accvgpr_read_b32 v9, a141                                // 000000007760: D3D84009 1800018D
	v_mul_f32_e32 v9, s38, v9                                  // 000000007768: 0A121226
	v_accvgpr_read_b32 v10, a142                               // 00000000776C: D3D8400A 1800018E
	v_mul_f32_e32 v10, s38, v10                                // 000000007774: 0A141426
	v_accvgpr_read_b32 v11, a143                               // 000000007778: D3D8400B 1800018F
	v_mul_f32_e32 v11, s38, v11                                // 000000007780: 0A161626
	v_accvgpr_read_b32 v12, a172                               // 000000007784: D3D8400C 180001AC
	v_mul_f32_e32 v12, s38, v12                                // 00000000778C: 0A181826
	v_accvgpr_read_b32 v13, a173                               // 000000007790: D3D8400D 180001AD
	v_mul_f32_e32 v13, s38, v13                                // 000000007798: 0A1A1A26
	v_accvgpr_read_b32 v14, a174                               // 00000000779C: D3D8400E 180001AE
	v_mul_f32_e32 v14, s38, v14                                // 0000000077A4: 0A1C1C26
	v_accvgpr_read_b32 v15, a175                               // 0000000077A8: D3D8400F 180001AF
	v_mul_f32_e32 v15, s38, v15                                // 0000000077B0: 0A1E1E26
	v_cvt_pk_bf16_f32 v16, v8, v9                              // 0000000077B4: D2680010 00021308
	v_cvt_pk_bf16_f32 v17, v10, v11                            // 0000000077BC: D2680011 0002170A
	v_cvt_pk_bf16_f32 v18, v12, v13                            // 0000000077C4: D2680012 00021B0C
	v_cvt_pk_bf16_f32 v19, v14, v15                            // 0000000077CC: D2680013 00021F0E
	s_nop 1                                                    // 0000000077D4: BF800001
	v_permlane16_swap_b32_e32 v16, v18                         // 0000000077D8: 7E20B312
	s_nop 1                                                    // 0000000077DC: BF800001
	v_permlane16_swap_b32_e32 v17, v19                         // 0000000077E0: 7E22B313
	s_nop 1                                                    // 0000000077E4: BF800001
	buffer_atomic_pk_add_bf16 v16, v246, s[4:7], 0 offen       // 0000000077E8: E1481000 800110F6
	buffer_atomic_pk_add_bf16 v17, v246, s[4:7], 0 offen offset:4// 0000000077F0: E1481004 800111F6
	buffer_atomic_pk_add_bf16 v18, v246, s[4:7], 0 offen offset:8// 0000000077F8: E1481008 800112F6
	buffer_atomic_pk_add_bf16 v19, v246, s[4:7], 0 offen offset:12// 000000007800: E148100C 800113F6
	v_add_i32 v246, v246, 64                                   // 000000007808: D29C00F6 000181F6
	v_accvgpr_read_b32 v8, a204                                // 000000007810: D3D84008 180001CC
	v_mul_f32_e32 v8, s38, v8                                  // 000000007818: 0A101026
	v_accvgpr_read_b32 v9, a205                                // 00000000781C: D3D84009 180001CD
	v_mul_f32_e32 v9, s38, v9                                  // 000000007824: 0A121226
	v_accvgpr_read_b32 v10, a206                               // 000000007828: D3D8400A 180001CE
	v_mul_f32_e32 v10, s38, v10                                // 000000007830: 0A141426
	v_accvgpr_read_b32 v11, a207                               // 000000007834: D3D8400B 180001CF
	v_mul_f32_e32 v11, s38, v11                                // 00000000783C: 0A161626
	v_accvgpr_read_b32 v12, a236                               // 000000007840: D3D8400C 180001EC
	v_mul_f32_e32 v12, s38, v12                                // 000000007848: 0A181826
	v_accvgpr_read_b32 v13, a237                               // 00000000784C: D3D8400D 180001ED
	v_mul_f32_e32 v13, s38, v13                                // 000000007854: 0A1A1A26
	v_accvgpr_read_b32 v14, a238                               // 000000007858: D3D8400E 180001EE
	v_mul_f32_e32 v14, s38, v14                                // 000000007860: 0A1C1C26
	v_accvgpr_read_b32 v15, a239                               // 000000007864: D3D8400F 180001EF
	v_mul_f32_e32 v15, s38, v15                                // 00000000786C: 0A1E1E26
	v_cvt_pk_bf16_f32 v16, v8, v9                              // 000000007870: D2680010 00021308
	v_cvt_pk_bf16_f32 v17, v10, v11                            // 000000007878: D2680011 0002170A
	v_cvt_pk_bf16_f32 v18, v12, v13                            // 000000007880: D2680012 00021B0C
	v_cvt_pk_bf16_f32 v19, v14, v15                            // 000000007888: D2680013 00021F0E
	s_nop 1                                                    // 000000007890: BF800001
	v_permlane16_swap_b32_e32 v16, v18                         // 000000007894: 7E20B312
	s_nop 1                                                    // 000000007898: BF800001
	v_permlane16_swap_b32_e32 v17, v19                         // 00000000789C: 7E22B313
	s_nop 1                                                    // 0000000078A0: BF800001
	buffer_atomic_pk_add_bf16 v16, v246, s[4:7], 0 offen       // 0000000078A4: E1481000 800110F6
	buffer_atomic_pk_add_bf16 v17, v246, s[4:7], 0 offen offset:4// 0000000078AC: E1481004 800111F6
	buffer_atomic_pk_add_bf16 v18, v246, s[4:7], 0 offen offset:8// 0000000078B4: E1481008 800112F6
	buffer_atomic_pk_add_bf16 v19, v246, s[4:7], 0 offen offset:12// 0000000078BC: E148100C 800113F6
	v_add_i32 v246, v246, 64                                   // 0000000078C4: D29C00F6 000181F6
	v_accvgpr_read_b32 v8, a144                                // 0000000078CC: D3D84008 18000190
	v_mul_f32_e32 v8, s38, v8                                  // 0000000078D4: 0A101026
	v_accvgpr_read_b32 v9, a145                                // 0000000078D8: D3D84009 18000191
	v_mul_f32_e32 v9, s38, v9                                  // 0000000078E0: 0A121226
	v_accvgpr_read_b32 v10, a146                               // 0000000078E4: D3D8400A 18000192
	v_mul_f32_e32 v10, s38, v10                                // 0000000078EC: 0A141426
	v_accvgpr_read_b32 v11, a147                               // 0000000078F0: D3D8400B 18000193
	v_mul_f32_e32 v11, s38, v11                                // 0000000078F8: 0A161626
	v_accvgpr_read_b32 v12, a176                               // 0000000078FC: D3D8400C 180001B0
	v_mul_f32_e32 v12, s38, v12                                // 000000007904: 0A181826
	v_accvgpr_read_b32 v13, a177                               // 000000007908: D3D8400D 180001B1
	v_mul_f32_e32 v13, s38, v13                                // 000000007910: 0A1A1A26
	v_accvgpr_read_b32 v14, a178                               // 000000007914: D3D8400E 180001B2
	v_mul_f32_e32 v14, s38, v14                                // 00000000791C: 0A1C1C26
	v_accvgpr_read_b32 v15, a179                               // 000000007920: D3D8400F 180001B3
	v_mul_f32_e32 v15, s38, v15                                // 000000007928: 0A1E1E26
	v_cvt_pk_bf16_f32 v16, v8, v9                              // 00000000792C: D2680010 00021308
	v_cvt_pk_bf16_f32 v17, v10, v11                            // 000000007934: D2680011 0002170A
	v_cvt_pk_bf16_f32 v18, v12, v13                            // 00000000793C: D2680012 00021B0C
	v_cvt_pk_bf16_f32 v19, v14, v15                            // 000000007944: D2680013 00021F0E
	s_nop 1                                                    // 00000000794C: BF800001
	v_permlane16_swap_b32_e32 v16, v18                         // 000000007950: 7E20B312
	s_nop 1                                                    // 000000007954: BF800001
	v_permlane16_swap_b32_e32 v17, v19                         // 000000007958: 7E22B313
	s_nop 1                                                    // 00000000795C: BF800001
	buffer_atomic_pk_add_bf16 v16, v247, s[4:7], 0 offen       // 000000007960: E1481000 800110F7
	buffer_atomic_pk_add_bf16 v17, v247, s[4:7], 0 offen offset:4// 000000007968: E1481004 800111F7
	buffer_atomic_pk_add_bf16 v18, v247, s[4:7], 0 offen offset:8// 000000007970: E1481008 800112F7
	buffer_atomic_pk_add_bf16 v19, v247, s[4:7], 0 offen offset:12// 000000007978: E148100C 800113F7
	v_add_i32 v247, v247, 64                                   // 000000007980: D29C00F7 000181F7
	v_accvgpr_read_b32 v8, a208                                // 000000007988: D3D84008 180001D0
	v_mul_f32_e32 v8, s38, v8                                  // 000000007990: 0A101026
	v_accvgpr_read_b32 v9, a209                                // 000000007994: D3D84009 180001D1
	v_mul_f32_e32 v9, s38, v9                                  // 00000000799C: 0A121226
	v_accvgpr_read_b32 v10, a210                               // 0000000079A0: D3D8400A 180001D2
	v_mul_f32_e32 v10, s38, v10                                // 0000000079A8: 0A141426
	v_accvgpr_read_b32 v11, a211                               // 0000000079AC: D3D8400B 180001D3
	v_mul_f32_e32 v11, s38, v11                                // 0000000079B4: 0A161626
	v_accvgpr_read_b32 v12, a240                               // 0000000079B8: D3D8400C 180001F0
	v_mul_f32_e32 v12, s38, v12                                // 0000000079C0: 0A181826
	v_accvgpr_read_b32 v13, a241                               // 0000000079C4: D3D8400D 180001F1
	v_mul_f32_e32 v13, s38, v13                                // 0000000079CC: 0A1A1A26
	v_accvgpr_read_b32 v14, a242                               // 0000000079D0: D3D8400E 180001F2
	v_mul_f32_e32 v14, s38, v14                                // 0000000079D8: 0A1C1C26
	v_accvgpr_read_b32 v15, a243                               // 0000000079DC: D3D8400F 180001F3
	v_mul_f32_e32 v15, s38, v15                                // 0000000079E4: 0A1E1E26
	v_cvt_pk_bf16_f32 v16, v8, v9                              // 0000000079E8: D2680010 00021308
	v_cvt_pk_bf16_f32 v17, v10, v11                            // 0000000079F0: D2680011 0002170A
	v_cvt_pk_bf16_f32 v18, v12, v13                            // 0000000079F8: D2680012 00021B0C
	v_cvt_pk_bf16_f32 v19, v14, v15                            // 000000007A00: D2680013 00021F0E
	s_nop 1                                                    // 000000007A08: BF800001
	v_permlane16_swap_b32_e32 v16, v18                         // 000000007A0C: 7E20B312
	s_nop 1                                                    // 000000007A10: BF800001
	v_permlane16_swap_b32_e32 v17, v19                         // 000000007A14: 7E22B313
	s_nop 1                                                    // 000000007A18: BF800001
	buffer_atomic_pk_add_bf16 v16, v247, s[4:7], 0 offen       // 000000007A1C: E1481000 800110F7
	buffer_atomic_pk_add_bf16 v17, v247, s[4:7], 0 offen offset:4// 000000007A24: E1481004 800111F7
	buffer_atomic_pk_add_bf16 v18, v247, s[4:7], 0 offen offset:8// 000000007A2C: E1481008 800112F7
	buffer_atomic_pk_add_bf16 v19, v247, s[4:7], 0 offen offset:12// 000000007A34: E148100C 800113F7
	v_add_i32 v247, v247, 64                                   // 000000007A3C: D29C00F7 000181F7
	v_accvgpr_read_b32 v8, a148                                // 000000007A44: D3D84008 18000194
	v_mul_f32_e32 v8, s38, v8                                  // 000000007A4C: 0A101026
	v_accvgpr_read_b32 v9, a149                                // 000000007A50: D3D84009 18000195
	v_mul_f32_e32 v9, s38, v9                                  // 000000007A58: 0A121226
	v_accvgpr_read_b32 v10, a150                               // 000000007A5C: D3D8400A 18000196
	v_mul_f32_e32 v10, s38, v10                                // 000000007A64: 0A141426
	v_accvgpr_read_b32 v11, a151                               // 000000007A68: D3D8400B 18000197
	v_mul_f32_e32 v11, s38, v11                                // 000000007A70: 0A161626
	v_accvgpr_read_b32 v12, a180                               // 000000007A74: D3D8400C 180001B4
	v_mul_f32_e32 v12, s38, v12                                // 000000007A7C: 0A181826
	v_accvgpr_read_b32 v13, a181                               // 000000007A80: D3D8400D 180001B5
	v_mul_f32_e32 v13, s38, v13                                // 000000007A88: 0A1A1A26
	v_accvgpr_read_b32 v14, a182                               // 000000007A8C: D3D8400E 180001B6
	v_mul_f32_e32 v14, s38, v14                                // 000000007A94: 0A1C1C26
	v_accvgpr_read_b32 v15, a183                               // 000000007A98: D3D8400F 180001B7
	v_mul_f32_e32 v15, s38, v15                                // 000000007AA0: 0A1E1E26
	v_cvt_pk_bf16_f32 v16, v8, v9                              // 000000007AA4: D2680010 00021308
	v_cvt_pk_bf16_f32 v17, v10, v11                            // 000000007AAC: D2680011 0002170A
	v_cvt_pk_bf16_f32 v18, v12, v13                            // 000000007AB4: D2680012 00021B0C
	v_cvt_pk_bf16_f32 v19, v14, v15                            // 000000007ABC: D2680013 00021F0E
	s_nop 1                                                    // 000000007AC4: BF800001
	v_permlane16_swap_b32_e32 v16, v18                         // 000000007AC8: 7E20B312
	s_nop 1                                                    // 000000007ACC: BF800001
	v_permlane16_swap_b32_e32 v17, v19                         // 000000007AD0: 7E22B313
	s_nop 1                                                    // 000000007AD4: BF800001
	buffer_atomic_pk_add_bf16 v16, v248, s[4:7], 0 offen       // 000000007AD8: E1481000 800110F8
	buffer_atomic_pk_add_bf16 v17, v248, s[4:7], 0 offen offset:4// 000000007AE0: E1481004 800111F8
	buffer_atomic_pk_add_bf16 v18, v248, s[4:7], 0 offen offset:8// 000000007AE8: E1481008 800112F8
	buffer_atomic_pk_add_bf16 v19, v248, s[4:7], 0 offen offset:12// 000000007AF0: E148100C 800113F8
	v_add_i32 v248, v248, 64                                   // 000000007AF8: D29C00F8 000181F8
	v_accvgpr_read_b32 v8, a212                                // 000000007B00: D3D84008 180001D4
	v_mul_f32_e32 v8, s38, v8                                  // 000000007B08: 0A101026
	v_accvgpr_read_b32 v9, a213                                // 000000007B0C: D3D84009 180001D5
	v_mul_f32_e32 v9, s38, v9                                  // 000000007B14: 0A121226
	v_accvgpr_read_b32 v10, a214                               // 000000007B18: D3D8400A 180001D6
	v_mul_f32_e32 v10, s38, v10                                // 000000007B20: 0A141426
	v_accvgpr_read_b32 v11, a215                               // 000000007B24: D3D8400B 180001D7
	v_mul_f32_e32 v11, s38, v11                                // 000000007B2C: 0A161626
	v_accvgpr_read_b32 v12, a244                               // 000000007B30: D3D8400C 180001F4
	v_mul_f32_e32 v12, s38, v12                                // 000000007B38: 0A181826
	v_accvgpr_read_b32 v13, a245                               // 000000007B3C: D3D8400D 180001F5
	v_mul_f32_e32 v13, s38, v13                                // 000000007B44: 0A1A1A26
	v_accvgpr_read_b32 v14, a246                               // 000000007B48: D3D8400E 180001F6
	v_mul_f32_e32 v14, s38, v14                                // 000000007B50: 0A1C1C26
	v_accvgpr_read_b32 v15, a247                               // 000000007B54: D3D8400F 180001F7
	v_mul_f32_e32 v15, s38, v15                                // 000000007B5C: 0A1E1E26
	v_cvt_pk_bf16_f32 v16, v8, v9                              // 000000007B60: D2680010 00021308
	v_cvt_pk_bf16_f32 v17, v10, v11                            // 000000007B68: D2680011 0002170A
	v_cvt_pk_bf16_f32 v18, v12, v13                            // 000000007B70: D2680012 00021B0C
	v_cvt_pk_bf16_f32 v19, v14, v15                            // 000000007B78: D2680013 00021F0E
	s_nop 1                                                    // 000000007B80: BF800001
	v_permlane16_swap_b32_e32 v16, v18                         // 000000007B84: 7E20B312
	s_nop 1                                                    // 000000007B88: BF800001
	v_permlane16_swap_b32_e32 v17, v19                         // 000000007B8C: 7E22B313
	s_nop 1                                                    // 000000007B90: BF800001
	buffer_atomic_pk_add_bf16 v16, v248, s[4:7], 0 offen       // 000000007B94: E1481000 800110F8
	buffer_atomic_pk_add_bf16 v17, v248, s[4:7], 0 offen offset:4// 000000007B9C: E1481004 800111F8
	buffer_atomic_pk_add_bf16 v18, v248, s[4:7], 0 offen offset:8// 000000007BA4: E1481008 800112F8
	buffer_atomic_pk_add_bf16 v19, v248, s[4:7], 0 offen offset:12// 000000007BAC: E148100C 800113F8
	v_add_i32 v248, v248, 64                                   // 000000007BB4: D29C00F8 000181F8
	v_accvgpr_read_b32 v8, a152                                // 000000007BBC: D3D84008 18000198
	v_mul_f32_e32 v8, s38, v8                                  // 000000007BC4: 0A101026
	v_accvgpr_read_b32 v9, a153                                // 000000007BC8: D3D84009 18000199
	v_mul_f32_e32 v9, s38, v9                                  // 000000007BD0: 0A121226
	v_accvgpr_read_b32 v10, a154                               // 000000007BD4: D3D8400A 1800019A
	v_mul_f32_e32 v10, s38, v10                                // 000000007BDC: 0A141426
	v_accvgpr_read_b32 v11, a155                               // 000000007BE0: D3D8400B 1800019B
	v_mul_f32_e32 v11, s38, v11                                // 000000007BE8: 0A161626
	v_accvgpr_read_b32 v12, a184                               // 000000007BEC: D3D8400C 180001B8
	v_mul_f32_e32 v12, s38, v12                                // 000000007BF4: 0A181826
	v_accvgpr_read_b32 v13, a185                               // 000000007BF8: D3D8400D 180001B9
	v_mul_f32_e32 v13, s38, v13                                // 000000007C00: 0A1A1A26
	v_accvgpr_read_b32 v14, a186                               // 000000007C04: D3D8400E 180001BA
	v_mul_f32_e32 v14, s38, v14                                // 000000007C0C: 0A1C1C26
	v_accvgpr_read_b32 v15, a187                               // 000000007C10: D3D8400F 180001BB
	v_mul_f32_e32 v15, s38, v15                                // 000000007C18: 0A1E1E26
	v_cvt_pk_bf16_f32 v16, v8, v9                              // 000000007C1C: D2680010 00021308
	v_cvt_pk_bf16_f32 v17, v10, v11                            // 000000007C24: D2680011 0002170A
	v_cvt_pk_bf16_f32 v18, v12, v13                            // 000000007C2C: D2680012 00021B0C
	v_cvt_pk_bf16_f32 v19, v14, v15                            // 000000007C34: D2680013 00021F0E
	s_nop 1                                                    // 000000007C3C: BF800001
	v_permlane16_swap_b32_e32 v16, v18                         // 000000007C40: 7E20B312
	s_nop 1                                                    // 000000007C44: BF800001
	v_permlane16_swap_b32_e32 v17, v19                         // 000000007C48: 7E22B313
	s_nop 1                                                    // 000000007C4C: BF800001
	buffer_atomic_pk_add_bf16 v16, v249, s[4:7], 0 offen       // 000000007C50: E1481000 800110F9
	buffer_atomic_pk_add_bf16 v17, v249, s[4:7], 0 offen offset:4// 000000007C58: E1481004 800111F9
	buffer_atomic_pk_add_bf16 v18, v249, s[4:7], 0 offen offset:8// 000000007C60: E1481008 800112F9
	buffer_atomic_pk_add_bf16 v19, v249, s[4:7], 0 offen offset:12// 000000007C68: E148100C 800113F9
	v_add_i32 v249, v249, 64                                   // 000000007C70: D29C00F9 000181F9
	v_accvgpr_read_b32 v8, a216                                // 000000007C78: D3D84008 180001D8
	v_mul_f32_e32 v8, s38, v8                                  // 000000007C80: 0A101026
	v_accvgpr_read_b32 v9, a217                                // 000000007C84: D3D84009 180001D9
	v_mul_f32_e32 v9, s38, v9                                  // 000000007C8C: 0A121226
	v_accvgpr_read_b32 v10, a218                               // 000000007C90: D3D8400A 180001DA
	v_mul_f32_e32 v10, s38, v10                                // 000000007C98: 0A141426
	v_accvgpr_read_b32 v11, a219                               // 000000007C9C: D3D8400B 180001DB
	v_mul_f32_e32 v11, s38, v11                                // 000000007CA4: 0A161626
	v_accvgpr_read_b32 v12, a248                               // 000000007CA8: D3D8400C 180001F8
	v_mul_f32_e32 v12, s38, v12                                // 000000007CB0: 0A181826
	v_accvgpr_read_b32 v13, a249                               // 000000007CB4: D3D8400D 180001F9
	v_mul_f32_e32 v13, s38, v13                                // 000000007CBC: 0A1A1A26
	v_accvgpr_read_b32 v14, a250                               // 000000007CC0: D3D8400E 180001FA
	v_mul_f32_e32 v14, s38, v14                                // 000000007CC8: 0A1C1C26
	v_accvgpr_read_b32 v15, a251                               // 000000007CCC: D3D8400F 180001FB
	v_mul_f32_e32 v15, s38, v15                                // 000000007CD4: 0A1E1E26
	v_cvt_pk_bf16_f32 v16, v8, v9                              // 000000007CD8: D2680010 00021308
	v_cvt_pk_bf16_f32 v17, v10, v11                            // 000000007CE0: D2680011 0002170A
	v_cvt_pk_bf16_f32 v18, v12, v13                            // 000000007CE8: D2680012 00021B0C
	v_cvt_pk_bf16_f32 v19, v14, v15                            // 000000007CF0: D2680013 00021F0E
	s_nop 1                                                    // 000000007CF8: BF800001
	v_permlane16_swap_b32_e32 v16, v18                         // 000000007CFC: 7E20B312
	s_nop 1                                                    // 000000007D00: BF800001
	v_permlane16_swap_b32_e32 v17, v19                         // 000000007D04: 7E22B313
	s_nop 1                                                    // 000000007D08: BF800001
	buffer_atomic_pk_add_bf16 v16, v249, s[4:7], 0 offen       // 000000007D0C: E1481000 800110F9
	buffer_atomic_pk_add_bf16 v17, v249, s[4:7], 0 offen offset:4// 000000007D14: E1481004 800111F9
	buffer_atomic_pk_add_bf16 v18, v249, s[4:7], 0 offen offset:8// 000000007D1C: E1481008 800112F9
	buffer_atomic_pk_add_bf16 v19, v249, s[4:7], 0 offen offset:12// 000000007D24: E148100C 800113F9
	v_add_i32 v249, v249, 64                                   // 000000007D2C: D29C00F9 000181F9
	v_accvgpr_read_b32 v8, a156                                // 000000007D34: D3D84008 1800019C
	v_mul_f32_e32 v8, s38, v8                                  // 000000007D3C: 0A101026
	v_accvgpr_read_b32 v9, a157                                // 000000007D40: D3D84009 1800019D
	v_mul_f32_e32 v9, s38, v9                                  // 000000007D48: 0A121226
	v_accvgpr_read_b32 v10, a158                               // 000000007D4C: D3D8400A 1800019E
	v_mul_f32_e32 v10, s38, v10                                // 000000007D54: 0A141426
	v_accvgpr_read_b32 v11, a159                               // 000000007D58: D3D8400B 1800019F
	v_mul_f32_e32 v11, s38, v11                                // 000000007D60: 0A161626
	v_accvgpr_read_b32 v12, a188                               // 000000007D64: D3D8400C 180001BC
	v_mul_f32_e32 v12, s38, v12                                // 000000007D6C: 0A181826
	v_accvgpr_read_b32 v13, a189                               // 000000007D70: D3D8400D 180001BD
	v_mul_f32_e32 v13, s38, v13                                // 000000007D78: 0A1A1A26
	v_accvgpr_read_b32 v14, a190                               // 000000007D7C: D3D8400E 180001BE
	v_mul_f32_e32 v14, s38, v14                                // 000000007D84: 0A1C1C26
	v_accvgpr_read_b32 v15, a191                               // 000000007D88: D3D8400F 180001BF
	v_mul_f32_e32 v15, s38, v15                                // 000000007D90: 0A1E1E26
	v_cvt_pk_bf16_f32 v16, v8, v9                              // 000000007D94: D2680010 00021308
	v_cvt_pk_bf16_f32 v17, v10, v11                            // 000000007D9C: D2680011 0002170A
	v_cvt_pk_bf16_f32 v18, v12, v13                            // 000000007DA4: D2680012 00021B0C
	v_cvt_pk_bf16_f32 v19, v14, v15                            // 000000007DAC: D2680013 00021F0E
	s_nop 1                                                    // 000000007DB4: BF800001
	v_permlane16_swap_b32_e32 v16, v18                         // 000000007DB8: 7E20B312
	s_nop 1                                                    // 000000007DBC: BF800001
	v_permlane16_swap_b32_e32 v17, v19                         // 000000007DC0: 7E22B313
	s_nop 1                                                    // 000000007DC4: BF800001
	buffer_atomic_pk_add_bf16 v16, v250, s[4:7], 0 offen       // 000000007DC8: E1481000 800110FA
	buffer_atomic_pk_add_bf16 v17, v250, s[4:7], 0 offen offset:4// 000000007DD0: E1481004 800111FA
	buffer_atomic_pk_add_bf16 v18, v250, s[4:7], 0 offen offset:8// 000000007DD8: E1481008 800112FA
	buffer_atomic_pk_add_bf16 v19, v250, s[4:7], 0 offen offset:12// 000000007DE0: E148100C 800113FA
	v_add_i32 v250, v250, 64                                   // 000000007DE8: D29C00FA 000181FA
	v_accvgpr_read_b32 v8, a220                                // 000000007DF0: D3D84008 180001DC
	v_mul_f32_e32 v8, s38, v8                                  // 000000007DF8: 0A101026
	v_accvgpr_read_b32 v9, a221                                // 000000007DFC: D3D84009 180001DD
	v_mul_f32_e32 v9, s38, v9                                  // 000000007E04: 0A121226
	v_accvgpr_read_b32 v10, a222                               // 000000007E08: D3D8400A 180001DE
	v_mul_f32_e32 v10, s38, v10                                // 000000007E10: 0A141426
	v_accvgpr_read_b32 v11, a223                               // 000000007E14: D3D8400B 180001DF
	v_mul_f32_e32 v11, s38, v11                                // 000000007E1C: 0A161626
	v_accvgpr_read_b32 v12, a252                               // 000000007E20: D3D8400C 180001FC
	v_mul_f32_e32 v12, s38, v12                                // 000000007E28: 0A181826
	v_accvgpr_read_b32 v13, a253                               // 000000007E2C: D3D8400D 180001FD
	v_mul_f32_e32 v13, s38, v13                                // 000000007E34: 0A1A1A26
	v_accvgpr_read_b32 v14, a254                               // 000000007E38: D3D8400E 180001FE
	v_mul_f32_e32 v14, s38, v14                                // 000000007E40: 0A1C1C26
	v_accvgpr_read_b32 v15, a255                               // 000000007E44: D3D8400F 180001FF
	v_mul_f32_e32 v15, s38, v15                                // 000000007E4C: 0A1E1E26
	v_cvt_pk_bf16_f32 v16, v8, v9                              // 000000007E50: D2680010 00021308
	v_cvt_pk_bf16_f32 v17, v10, v11                            // 000000007E58: D2680011 0002170A
	v_cvt_pk_bf16_f32 v18, v12, v13                            // 000000007E60: D2680012 00021B0C
	v_cvt_pk_bf16_f32 v19, v14, v15                            // 000000007E68: D2680013 00021F0E
	s_nop 1                                                    // 000000007E70: BF800001
	v_permlane16_swap_b32_e32 v16, v18                         // 000000007E74: 7E20B312
	s_nop 1                                                    // 000000007E78: BF800001
	v_permlane16_swap_b32_e32 v17, v19                         // 000000007E7C: 7E22B313
	s_nop 1                                                    // 000000007E80: BF800001
	buffer_atomic_pk_add_bf16 v16, v250, s[4:7], 0 offen       // 000000007E84: E1481000 800110FA
	buffer_atomic_pk_add_bf16 v17, v250, s[4:7], 0 offen offset:4// 000000007E8C: E1481004 800111FA
	buffer_atomic_pk_add_bf16 v18, v250, s[4:7], 0 offen offset:8// 000000007E94: E1481008 800112FA
	buffer_atomic_pk_add_bf16 v19, v250, s[4:7], 0 offen offset:12// 000000007E9C: E148100C 800113FA
	v_add_i32 v250, v250, 64                                   // 000000007EA4: D29C00FA 000181FA
	s_branch label_19CC                                        // 000000007EAC: BF820520

0000000000007eb0 <label_14AC>:
	v_accvgpr_read_b32 v8, a0                                  // 000000007EB0: D3D84008 18000100
	v_mul_f32_e32 v8, s38, v8                                  // 000000007EB8: 0A101026
	v_accvgpr_read_b32 v9, a1                                  // 000000007EBC: D3D84009 18000101
	v_mul_f32_e32 v9, s38, v9                                  // 000000007EC4: 0A121226
	v_accvgpr_read_b32 v10, a2                                 // 000000007EC8: D3D8400A 18000102
	v_mul_f32_e32 v10, s38, v10                                // 000000007ED0: 0A141426
	v_accvgpr_read_b32 v11, a3                                 // 000000007ED4: D3D8400B 18000103
	v_mul_f32_e32 v11, s38, v11                                // 000000007EDC: 0A161626
	v_accvgpr_read_b32 v12, a32                                // 000000007EE0: D3D8400C 18000120
	v_mul_f32_e32 v12, s38, v12                                // 000000007EE8: 0A181826
	v_accvgpr_read_b32 v13, a33                                // 000000007EEC: D3D8400D 18000121
	v_mul_f32_e32 v13, s38, v13                                // 000000007EF4: 0A1A1A26
	v_accvgpr_read_b32 v14, a34                                // 000000007EF8: D3D8400E 18000122
	v_mul_f32_e32 v14, s38, v14                                // 000000007F00: 0A1C1C26
	v_accvgpr_read_b32 v15, a35                                // 000000007F04: D3D8400F 18000123
	v_mul_f32_e32 v15, s38, v15                                // 000000007F0C: 0A1E1E26
	v_cvt_pk_bf16_f32 v16, v8, v9                              // 000000007F10: D2680010 00021308
	v_cvt_pk_bf16_f32 v17, v10, v11                            // 000000007F18: D2680011 0002170A
	v_cvt_pk_bf16_f32 v18, v12, v13                            // 000000007F20: D2680012 00021B0C
	v_cvt_pk_bf16_f32 v19, v14, v15                            // 000000007F28: D2680013 00021F0E
	s_nop 1                                                    // 000000007F30: BF800001
	v_permlane16_swap_b32_e32 v16, v18                         // 000000007F34: 7E20B312
	s_nop 1                                                    // 000000007F38: BF800001
	v_permlane16_swap_b32_e32 v17, v19                         // 000000007F3C: 7E22B313
	s_nop 1                                                    // 000000007F40: BF800001
	buffer_store_dwordx4 v[16:19], v235, s[4:7], 0 offen       // 000000007F44: E07C1000 800110EB
	v_add_i32 v235, v235, 64                                   // 000000007F4C: D29C00EB 000181EB
	v_accvgpr_read_b32 v8, a64                                 // 000000007F54: D3D84008 18000140
	v_mul_f32_e32 v8, s38, v8                                  // 000000007F5C: 0A101026
	v_accvgpr_read_b32 v9, a65                                 // 000000007F60: D3D84009 18000141
	v_mul_f32_e32 v9, s38, v9                                  // 000000007F68: 0A121226
	v_accvgpr_read_b32 v10, a66                                // 000000007F6C: D3D8400A 18000142
	v_mul_f32_e32 v10, s38, v10                                // 000000007F74: 0A141426
	v_accvgpr_read_b32 v11, a67                                // 000000007F78: D3D8400B 18000143
	v_mul_f32_e32 v11, s38, v11                                // 000000007F80: 0A161626
	v_accvgpr_read_b32 v12, a96                                // 000000007F84: D3D8400C 18000160
	v_mul_f32_e32 v12, s38, v12                                // 000000007F8C: 0A181826
	v_accvgpr_read_b32 v13, a97                                // 000000007F90: D3D8400D 18000161
	v_mul_f32_e32 v13, s38, v13                                // 000000007F98: 0A1A1A26
	v_accvgpr_read_b32 v14, a98                                // 000000007F9C: D3D8400E 18000162
	v_mul_f32_e32 v14, s38, v14                                // 000000007FA4: 0A1C1C26
	v_accvgpr_read_b32 v15, a99                                // 000000007FA8: D3D8400F 18000163
	v_mul_f32_e32 v15, s38, v15                                // 000000007FB0: 0A1E1E26
	v_cvt_pk_bf16_f32 v16, v8, v9                              // 000000007FB4: D2680010 00021308
	v_cvt_pk_bf16_f32 v17, v10, v11                            // 000000007FBC: D2680011 0002170A
	v_cvt_pk_bf16_f32 v18, v12, v13                            // 000000007FC4: D2680012 00021B0C
	v_cvt_pk_bf16_f32 v19, v14, v15                            // 000000007FCC: D2680013 00021F0E
	s_nop 1                                                    // 000000007FD4: BF800001
	v_permlane16_swap_b32_e32 v16, v18                         // 000000007FD8: 7E20B312
	s_nop 1                                                    // 000000007FDC: BF800001
	v_permlane16_swap_b32_e32 v17, v19                         // 000000007FE0: 7E22B313
	s_nop 1                                                    // 000000007FE4: BF800001
	buffer_store_dwordx4 v[16:19], v235, s[4:7], 0 offen       // 000000007FE8: E07C1000 800110EB
	v_add_i32 v235, v235, 64                                   // 000000007FF0: D29C00EB 000181EB
	v_accvgpr_read_b32 v8, a4                                  // 000000007FF8: D3D84008 18000104
	v_mul_f32_e32 v8, s38, v8                                  // 000000008000: 0A101026
	v_accvgpr_read_b32 v9, a5                                  // 000000008004: D3D84009 18000105
	v_mul_f32_e32 v9, s38, v9                                  // 00000000800C: 0A121226
	v_accvgpr_read_b32 v10, a6                                 // 000000008010: D3D8400A 18000106
	v_mul_f32_e32 v10, s38, v10                                // 000000008018: 0A141426
	v_accvgpr_read_b32 v11, a7                                 // 00000000801C: D3D8400B 18000107
	v_mul_f32_e32 v11, s38, v11                                // 000000008024: 0A161626
	v_accvgpr_read_b32 v12, a36                                // 000000008028: D3D8400C 18000124
	v_mul_f32_e32 v12, s38, v12                                // 000000008030: 0A181826
	v_accvgpr_read_b32 v13, a37                                // 000000008034: D3D8400D 18000125
	v_mul_f32_e32 v13, s38, v13                                // 00000000803C: 0A1A1A26
	v_accvgpr_read_b32 v14, a38                                // 000000008040: D3D8400E 18000126
	v_mul_f32_e32 v14, s38, v14                                // 000000008048: 0A1C1C26
	v_accvgpr_read_b32 v15, a39                                // 00000000804C: D3D8400F 18000127
	v_mul_f32_e32 v15, s38, v15                                // 000000008054: 0A1E1E26
	v_cvt_pk_bf16_f32 v16, v8, v9                              // 000000008058: D2680010 00021308
	v_cvt_pk_bf16_f32 v17, v10, v11                            // 000000008060: D2680011 0002170A
	v_cvt_pk_bf16_f32 v18, v12, v13                            // 000000008068: D2680012 00021B0C
	v_cvt_pk_bf16_f32 v19, v14, v15                            // 000000008070: D2680013 00021F0E
	s_nop 1                                                    // 000000008078: BF800001
	v_permlane16_swap_b32_e32 v16, v18                         // 00000000807C: 7E20B312
	s_nop 1                                                    // 000000008080: BF800001
	v_permlane16_swap_b32_e32 v17, v19                         // 000000008084: 7E22B313
	s_nop 1                                                    // 000000008088: BF800001
	buffer_store_dwordx4 v[16:19], v236, s[4:7], 0 offen       // 00000000808C: E07C1000 800110EC
	v_add_i32 v236, v236, 64                                   // 000000008094: D29C00EC 000181EC
	v_accvgpr_read_b32 v8, a68                                 // 00000000809C: D3D84008 18000144
	v_mul_f32_e32 v8, s38, v8                                  // 0000000080A4: 0A101026
	v_accvgpr_read_b32 v9, a69                                 // 0000000080A8: D3D84009 18000145
	v_mul_f32_e32 v9, s38, v9                                  // 0000000080B0: 0A121226
	v_accvgpr_read_b32 v10, a70                                // 0000000080B4: D3D8400A 18000146
	v_mul_f32_e32 v10, s38, v10                                // 0000000080BC: 0A141426
	v_accvgpr_read_b32 v11, a71                                // 0000000080C0: D3D8400B 18000147
	v_mul_f32_e32 v11, s38, v11                                // 0000000080C8: 0A161626
	v_accvgpr_read_b32 v12, a100                               // 0000000080CC: D3D8400C 18000164
	v_mul_f32_e32 v12, s38, v12                                // 0000000080D4: 0A181826
	v_accvgpr_read_b32 v13, a101                               // 0000000080D8: D3D8400D 18000165
	v_mul_f32_e32 v13, s38, v13                                // 0000000080E0: 0A1A1A26
	v_accvgpr_read_b32 v14, a102                               // 0000000080E4: D3D8400E 18000166
	v_mul_f32_e32 v14, s38, v14                                // 0000000080EC: 0A1C1C26
	v_accvgpr_read_b32 v15, a103                               // 0000000080F0: D3D8400F 18000167
	v_mul_f32_e32 v15, s38, v15                                // 0000000080F8: 0A1E1E26
	v_cvt_pk_bf16_f32 v16, v8, v9                              // 0000000080FC: D2680010 00021308
	v_cvt_pk_bf16_f32 v17, v10, v11                            // 000000008104: D2680011 0002170A
	v_cvt_pk_bf16_f32 v18, v12, v13                            // 00000000810C: D2680012 00021B0C
	v_cvt_pk_bf16_f32 v19, v14, v15                            // 000000008114: D2680013 00021F0E
	s_nop 1                                                    // 00000000811C: BF800001
	v_permlane16_swap_b32_e32 v16, v18                         // 000000008120: 7E20B312
	s_nop 1                                                    // 000000008124: BF800001
	v_permlane16_swap_b32_e32 v17, v19                         // 000000008128: 7E22B313
	s_nop 1                                                    // 00000000812C: BF800001
	buffer_store_dwordx4 v[16:19], v236, s[4:7], 0 offen       // 000000008130: E07C1000 800110EC
	v_add_i32 v236, v236, 64                                   // 000000008138: D29C00EC 000181EC
	v_accvgpr_read_b32 v8, a8                                  // 000000008140: D3D84008 18000108
	v_mul_f32_e32 v8, s38, v8                                  // 000000008148: 0A101026
	v_accvgpr_read_b32 v9, a9                                  // 00000000814C: D3D84009 18000109
	v_mul_f32_e32 v9, s38, v9                                  // 000000008154: 0A121226
	v_accvgpr_read_b32 v10, a10                                // 000000008158: D3D8400A 1800010A
	v_mul_f32_e32 v10, s38, v10                                // 000000008160: 0A141426
	v_accvgpr_read_b32 v11, a11                                // 000000008164: D3D8400B 1800010B
	v_mul_f32_e32 v11, s38, v11                                // 00000000816C: 0A161626
	v_accvgpr_read_b32 v12, a40                                // 000000008170: D3D8400C 18000128
	v_mul_f32_e32 v12, s38, v12                                // 000000008178: 0A181826
	v_accvgpr_read_b32 v13, a41                                // 00000000817C: D3D8400D 18000129
	v_mul_f32_e32 v13, s38, v13                                // 000000008184: 0A1A1A26
	v_accvgpr_read_b32 v14, a42                                // 000000008188: D3D8400E 1800012A
	v_mul_f32_e32 v14, s38, v14                                // 000000008190: 0A1C1C26
	v_accvgpr_read_b32 v15, a43                                // 000000008194: D3D8400F 1800012B
	v_mul_f32_e32 v15, s38, v15                                // 00000000819C: 0A1E1E26
	v_cvt_pk_bf16_f32 v16, v8, v9                              // 0000000081A0: D2680010 00021308
	v_cvt_pk_bf16_f32 v17, v10, v11                            // 0000000081A8: D2680011 0002170A
	v_cvt_pk_bf16_f32 v18, v12, v13                            // 0000000081B0: D2680012 00021B0C
	v_cvt_pk_bf16_f32 v19, v14, v15                            // 0000000081B8: D2680013 00021F0E
	s_nop 1                                                    // 0000000081C0: BF800001
	v_permlane16_swap_b32_e32 v16, v18                         // 0000000081C4: 7E20B312
	s_nop 1                                                    // 0000000081C8: BF800001
	v_permlane16_swap_b32_e32 v17, v19                         // 0000000081CC: 7E22B313
	s_nop 1                                                    // 0000000081D0: BF800001
	buffer_store_dwordx4 v[16:19], v237, s[4:7], 0 offen       // 0000000081D4: E07C1000 800110ED
	v_add_i32 v237, v237, 64                                   // 0000000081DC: D29C00ED 000181ED
	v_accvgpr_read_b32 v8, a72                                 // 0000000081E4: D3D84008 18000148
	v_mul_f32_e32 v8, s38, v8                                  // 0000000081EC: 0A101026
	v_accvgpr_read_b32 v9, a73                                 // 0000000081F0: D3D84009 18000149
	v_mul_f32_e32 v9, s38, v9                                  // 0000000081F8: 0A121226
	v_accvgpr_read_b32 v10, a74                                // 0000000081FC: D3D8400A 1800014A
	v_mul_f32_e32 v10, s38, v10                                // 000000008204: 0A141426
	v_accvgpr_read_b32 v11, a75                                // 000000008208: D3D8400B 1800014B
	v_mul_f32_e32 v11, s38, v11                                // 000000008210: 0A161626
	v_accvgpr_read_b32 v12, a104                               // 000000008214: D3D8400C 18000168
	v_mul_f32_e32 v12, s38, v12                                // 00000000821C: 0A181826
	v_accvgpr_read_b32 v13, a105                               // 000000008220: D3D8400D 18000169
	v_mul_f32_e32 v13, s38, v13                                // 000000008228: 0A1A1A26
	v_accvgpr_read_b32 v14, a106                               // 00000000822C: D3D8400E 1800016A
	v_mul_f32_e32 v14, s38, v14                                // 000000008234: 0A1C1C26
	v_accvgpr_read_b32 v15, a107                               // 000000008238: D3D8400F 1800016B
	v_mul_f32_e32 v15, s38, v15                                // 000000008240: 0A1E1E26
	v_cvt_pk_bf16_f32 v16, v8, v9                              // 000000008244: D2680010 00021308
	v_cvt_pk_bf16_f32 v17, v10, v11                            // 00000000824C: D2680011 0002170A
	v_cvt_pk_bf16_f32 v18, v12, v13                            // 000000008254: D2680012 00021B0C
	v_cvt_pk_bf16_f32 v19, v14, v15                            // 00000000825C: D2680013 00021F0E
	s_nop 1                                                    // 000000008264: BF800001
	v_permlane16_swap_b32_e32 v16, v18                         // 000000008268: 7E20B312
	s_nop 1                                                    // 00000000826C: BF800001
	v_permlane16_swap_b32_e32 v17, v19                         // 000000008270: 7E22B313
	s_nop 1                                                    // 000000008274: BF800001
	buffer_store_dwordx4 v[16:19], v237, s[4:7], 0 offen       // 000000008278: E07C1000 800110ED
	v_add_i32 v237, v237, 64                                   // 000000008280: D29C00ED 000181ED
	v_accvgpr_read_b32 v8, a12                                 // 000000008288: D3D84008 1800010C
	v_mul_f32_e32 v8, s38, v8                                  // 000000008290: 0A101026
	v_accvgpr_read_b32 v9, a13                                 // 000000008294: D3D84009 1800010D
	v_mul_f32_e32 v9, s38, v9                                  // 00000000829C: 0A121226
	v_accvgpr_read_b32 v10, a14                                // 0000000082A0: D3D8400A 1800010E
	v_mul_f32_e32 v10, s38, v10                                // 0000000082A8: 0A141426
	v_accvgpr_read_b32 v11, a15                                // 0000000082AC: D3D8400B 1800010F
	v_mul_f32_e32 v11, s38, v11                                // 0000000082B4: 0A161626
	v_accvgpr_read_b32 v12, a44                                // 0000000082B8: D3D8400C 1800012C
	v_mul_f32_e32 v12, s38, v12                                // 0000000082C0: 0A181826
	v_accvgpr_read_b32 v13, a45                                // 0000000082C4: D3D8400D 1800012D
	v_mul_f32_e32 v13, s38, v13                                // 0000000082CC: 0A1A1A26
	v_accvgpr_read_b32 v14, a46                                // 0000000082D0: D3D8400E 1800012E
	v_mul_f32_e32 v14, s38, v14                                // 0000000082D8: 0A1C1C26
	v_accvgpr_read_b32 v15, a47                                // 0000000082DC: D3D8400F 1800012F
	v_mul_f32_e32 v15, s38, v15                                // 0000000082E4: 0A1E1E26
	v_cvt_pk_bf16_f32 v16, v8, v9                              // 0000000082E8: D2680010 00021308
	v_cvt_pk_bf16_f32 v17, v10, v11                            // 0000000082F0: D2680011 0002170A
	v_cvt_pk_bf16_f32 v18, v12, v13                            // 0000000082F8: D2680012 00021B0C
	v_cvt_pk_bf16_f32 v19, v14, v15                            // 000000008300: D2680013 00021F0E
	s_nop 1                                                    // 000000008308: BF800001
	v_permlane16_swap_b32_e32 v16, v18                         // 00000000830C: 7E20B312
	s_nop 1                                                    // 000000008310: BF800001
	v_permlane16_swap_b32_e32 v17, v19                         // 000000008314: 7E22B313
	s_nop 1                                                    // 000000008318: BF800001
	buffer_store_dwordx4 v[16:19], v238, s[4:7], 0 offen       // 00000000831C: E07C1000 800110EE
	v_add_i32 v238, v238, 64                                   // 000000008324: D29C00EE 000181EE
	v_accvgpr_read_b32 v8, a76                                 // 00000000832C: D3D84008 1800014C
	v_mul_f32_e32 v8, s38, v8                                  // 000000008334: 0A101026
	v_accvgpr_read_b32 v9, a77                                 // 000000008338: D3D84009 1800014D
	v_mul_f32_e32 v9, s38, v9                                  // 000000008340: 0A121226
	v_accvgpr_read_b32 v10, a78                                // 000000008344: D3D8400A 1800014E
	v_mul_f32_e32 v10, s38, v10                                // 00000000834C: 0A141426
	v_accvgpr_read_b32 v11, a79                                // 000000008350: D3D8400B 1800014F
	v_mul_f32_e32 v11, s38, v11                                // 000000008358: 0A161626
	v_accvgpr_read_b32 v12, a108                               // 00000000835C: D3D8400C 1800016C
	v_mul_f32_e32 v12, s38, v12                                // 000000008364: 0A181826
	v_accvgpr_read_b32 v13, a109                               // 000000008368: D3D8400D 1800016D
	v_mul_f32_e32 v13, s38, v13                                // 000000008370: 0A1A1A26
	v_accvgpr_read_b32 v14, a110                               // 000000008374: D3D8400E 1800016E
	v_mul_f32_e32 v14, s38, v14                                // 00000000837C: 0A1C1C26
	v_accvgpr_read_b32 v15, a111                               // 000000008380: D3D8400F 1800016F
	v_mul_f32_e32 v15, s38, v15                                // 000000008388: 0A1E1E26
	v_cvt_pk_bf16_f32 v16, v8, v9                              // 00000000838C: D2680010 00021308
	v_cvt_pk_bf16_f32 v17, v10, v11                            // 000000008394: D2680011 0002170A
	v_cvt_pk_bf16_f32 v18, v12, v13                            // 00000000839C: D2680012 00021B0C
	v_cvt_pk_bf16_f32 v19, v14, v15                            // 0000000083A4: D2680013 00021F0E
	s_nop 1                                                    // 0000000083AC: BF800001
	v_permlane16_swap_b32_e32 v16, v18                         // 0000000083B0: 7E20B312
	s_nop 1                                                    // 0000000083B4: BF800001
	v_permlane16_swap_b32_e32 v17, v19                         // 0000000083B8: 7E22B313
	s_nop 1                                                    // 0000000083BC: BF800001
	buffer_store_dwordx4 v[16:19], v238, s[4:7], 0 offen       // 0000000083C0: E07C1000 800110EE
	v_add_i32 v238, v238, 64                                   // 0000000083C8: D29C00EE 000181EE
	v_accvgpr_read_b32 v8, a16                                 // 0000000083D0: D3D84008 18000110
	v_mul_f32_e32 v8, s38, v8                                  // 0000000083D8: 0A101026
	v_accvgpr_read_b32 v9, a17                                 // 0000000083DC: D3D84009 18000111
	v_mul_f32_e32 v9, s38, v9                                  // 0000000083E4: 0A121226
	v_accvgpr_read_b32 v10, a18                                // 0000000083E8: D3D8400A 18000112
	v_mul_f32_e32 v10, s38, v10                                // 0000000083F0: 0A141426
	v_accvgpr_read_b32 v11, a19                                // 0000000083F4: D3D8400B 18000113
	v_mul_f32_e32 v11, s38, v11                                // 0000000083FC: 0A161626
	v_accvgpr_read_b32 v12, a48                                // 000000008400: D3D8400C 18000130
	v_mul_f32_e32 v12, s38, v12                                // 000000008408: 0A181826
	v_accvgpr_read_b32 v13, a49                                // 00000000840C: D3D8400D 18000131
	v_mul_f32_e32 v13, s38, v13                                // 000000008414: 0A1A1A26
	v_accvgpr_read_b32 v14, a50                                // 000000008418: D3D8400E 18000132
	v_mul_f32_e32 v14, s38, v14                                // 000000008420: 0A1C1C26
	v_accvgpr_read_b32 v15, a51                                // 000000008424: D3D8400F 18000133
	v_mul_f32_e32 v15, s38, v15                                // 00000000842C: 0A1E1E26
	v_cvt_pk_bf16_f32 v16, v8, v9                              // 000000008430: D2680010 00021308
	v_cvt_pk_bf16_f32 v17, v10, v11                            // 000000008438: D2680011 0002170A
	v_cvt_pk_bf16_f32 v18, v12, v13                            // 000000008440: D2680012 00021B0C
	v_cvt_pk_bf16_f32 v19, v14, v15                            // 000000008448: D2680013 00021F0E
	s_nop 1                                                    // 000000008450: BF800001
	v_permlane16_swap_b32_e32 v16, v18                         // 000000008454: 7E20B312
	s_nop 1                                                    // 000000008458: BF800001
	v_permlane16_swap_b32_e32 v17, v19                         // 00000000845C: 7E22B313
	s_nop 1                                                    // 000000008460: BF800001
	buffer_store_dwordx4 v[16:19], v239, s[4:7], 0 offen       // 000000008464: E07C1000 800110EF
	v_add_i32 v239, v239, 64                                   // 00000000846C: D29C00EF 000181EF
	v_accvgpr_read_b32 v8, a80                                 // 000000008474: D3D84008 18000150
	v_mul_f32_e32 v8, s38, v8                                  // 00000000847C: 0A101026
	v_accvgpr_read_b32 v9, a81                                 // 000000008480: D3D84009 18000151
	v_mul_f32_e32 v9, s38, v9                                  // 000000008488: 0A121226
	v_accvgpr_read_b32 v10, a82                                // 00000000848C: D3D8400A 18000152
	v_mul_f32_e32 v10, s38, v10                                // 000000008494: 0A141426
	v_accvgpr_read_b32 v11, a83                                // 000000008498: D3D8400B 18000153
	v_mul_f32_e32 v11, s38, v11                                // 0000000084A0: 0A161626
	v_accvgpr_read_b32 v12, a112                               // 0000000084A4: D3D8400C 18000170
	v_mul_f32_e32 v12, s38, v12                                // 0000000084AC: 0A181826
	v_accvgpr_read_b32 v13, a113                               // 0000000084B0: D3D8400D 18000171
	v_mul_f32_e32 v13, s38, v13                                // 0000000084B8: 0A1A1A26
	v_accvgpr_read_b32 v14, a114                               // 0000000084BC: D3D8400E 18000172
	v_mul_f32_e32 v14, s38, v14                                // 0000000084C4: 0A1C1C26
	v_accvgpr_read_b32 v15, a115                               // 0000000084C8: D3D8400F 18000173
	v_mul_f32_e32 v15, s38, v15                                // 0000000084D0: 0A1E1E26
	v_cvt_pk_bf16_f32 v16, v8, v9                              // 0000000084D4: D2680010 00021308
	v_cvt_pk_bf16_f32 v17, v10, v11                            // 0000000084DC: D2680011 0002170A
	v_cvt_pk_bf16_f32 v18, v12, v13                            // 0000000084E4: D2680012 00021B0C
	v_cvt_pk_bf16_f32 v19, v14, v15                            // 0000000084EC: D2680013 00021F0E
	s_nop 1                                                    // 0000000084F4: BF800001
	v_permlane16_swap_b32_e32 v16, v18                         // 0000000084F8: 7E20B312
	s_nop 1                                                    // 0000000084FC: BF800001
	v_permlane16_swap_b32_e32 v17, v19                         // 000000008500: 7E22B313
	s_nop 1                                                    // 000000008504: BF800001
	buffer_store_dwordx4 v[16:19], v239, s[4:7], 0 offen       // 000000008508: E07C1000 800110EF
	v_add_i32 v239, v239, 64                                   // 000000008510: D29C00EF 000181EF
	v_accvgpr_read_b32 v8, a20                                 // 000000008518: D3D84008 18000114
	v_mul_f32_e32 v8, s38, v8                                  // 000000008520: 0A101026
	v_accvgpr_read_b32 v9, a21                                 // 000000008524: D3D84009 18000115
	v_mul_f32_e32 v9, s38, v9                                  // 00000000852C: 0A121226
	v_accvgpr_read_b32 v10, a22                                // 000000008530: D3D8400A 18000116
	v_mul_f32_e32 v10, s38, v10                                // 000000008538: 0A141426
	v_accvgpr_read_b32 v11, a23                                // 00000000853C: D3D8400B 18000117
	v_mul_f32_e32 v11, s38, v11                                // 000000008544: 0A161626
	v_accvgpr_read_b32 v12, a52                                // 000000008548: D3D8400C 18000134
	v_mul_f32_e32 v12, s38, v12                                // 000000008550: 0A181826
	v_accvgpr_read_b32 v13, a53                                // 000000008554: D3D8400D 18000135
	v_mul_f32_e32 v13, s38, v13                                // 00000000855C: 0A1A1A26
	v_accvgpr_read_b32 v14, a54                                // 000000008560: D3D8400E 18000136
	v_mul_f32_e32 v14, s38, v14                                // 000000008568: 0A1C1C26
	v_accvgpr_read_b32 v15, a55                                // 00000000856C: D3D8400F 18000137
	v_mul_f32_e32 v15, s38, v15                                // 000000008574: 0A1E1E26
	v_cvt_pk_bf16_f32 v16, v8, v9                              // 000000008578: D2680010 00021308
	v_cvt_pk_bf16_f32 v17, v10, v11                            // 000000008580: D2680011 0002170A
	v_cvt_pk_bf16_f32 v18, v12, v13                            // 000000008588: D2680012 00021B0C
	v_cvt_pk_bf16_f32 v19, v14, v15                            // 000000008590: D2680013 00021F0E
	s_nop 1                                                    // 000000008598: BF800001
	v_permlane16_swap_b32_e32 v16, v18                         // 00000000859C: 7E20B312
	s_nop 1                                                    // 0000000085A0: BF800001
	v_permlane16_swap_b32_e32 v17, v19                         // 0000000085A4: 7E22B313
	s_nop 1                                                    // 0000000085A8: BF800001
	buffer_store_dwordx4 v[16:19], v240, s[4:7], 0 offen       // 0000000085AC: E07C1000 800110F0
	v_add_i32 v240, v240, 64                                   // 0000000085B4: D29C00F0 000181F0
	v_accvgpr_read_b32 v8, a84                                 // 0000000085BC: D3D84008 18000154
	v_mul_f32_e32 v8, s38, v8                                  // 0000000085C4: 0A101026
	v_accvgpr_read_b32 v9, a85                                 // 0000000085C8: D3D84009 18000155
	v_mul_f32_e32 v9, s38, v9                                  // 0000000085D0: 0A121226
	v_accvgpr_read_b32 v10, a86                                // 0000000085D4: D3D8400A 18000156
	v_mul_f32_e32 v10, s38, v10                                // 0000000085DC: 0A141426
	v_accvgpr_read_b32 v11, a87                                // 0000000085E0: D3D8400B 18000157
	v_mul_f32_e32 v11, s38, v11                                // 0000000085E8: 0A161626
	v_accvgpr_read_b32 v12, a116                               // 0000000085EC: D3D8400C 18000174
	v_mul_f32_e32 v12, s38, v12                                // 0000000085F4: 0A181826
	v_accvgpr_read_b32 v13, a117                               // 0000000085F8: D3D8400D 18000175
	v_mul_f32_e32 v13, s38, v13                                // 000000008600: 0A1A1A26
	v_accvgpr_read_b32 v14, a118                               // 000000008604: D3D8400E 18000176
	v_mul_f32_e32 v14, s38, v14                                // 00000000860C: 0A1C1C26
	v_accvgpr_read_b32 v15, a119                               // 000000008610: D3D8400F 18000177
	v_mul_f32_e32 v15, s38, v15                                // 000000008618: 0A1E1E26
	v_cvt_pk_bf16_f32 v16, v8, v9                              // 00000000861C: D2680010 00021308
	v_cvt_pk_bf16_f32 v17, v10, v11                            // 000000008624: D2680011 0002170A
	v_cvt_pk_bf16_f32 v18, v12, v13                            // 00000000862C: D2680012 00021B0C
	v_cvt_pk_bf16_f32 v19, v14, v15                            // 000000008634: D2680013 00021F0E
	s_nop 1                                                    // 00000000863C: BF800001
	v_permlane16_swap_b32_e32 v16, v18                         // 000000008640: 7E20B312
	s_nop 1                                                    // 000000008644: BF800001
	v_permlane16_swap_b32_e32 v17, v19                         // 000000008648: 7E22B313
	s_nop 1                                                    // 00000000864C: BF800001
	buffer_store_dwordx4 v[16:19], v240, s[4:7], 0 offen       // 000000008650: E07C1000 800110F0
	v_add_i32 v240, v240, 64                                   // 000000008658: D29C00F0 000181F0
	v_accvgpr_read_b32 v8, a24                                 // 000000008660: D3D84008 18000118
	v_mul_f32_e32 v8, s38, v8                                  // 000000008668: 0A101026
	v_accvgpr_read_b32 v9, a25                                 // 00000000866C: D3D84009 18000119
	v_mul_f32_e32 v9, s38, v9                                  // 000000008674: 0A121226
	v_accvgpr_read_b32 v10, a26                                // 000000008678: D3D8400A 1800011A
	v_mul_f32_e32 v10, s38, v10                                // 000000008680: 0A141426
	v_accvgpr_read_b32 v11, a27                                // 000000008684: D3D8400B 1800011B
	v_mul_f32_e32 v11, s38, v11                                // 00000000868C: 0A161626
	v_accvgpr_read_b32 v12, a56                                // 000000008690: D3D8400C 18000138
	v_mul_f32_e32 v12, s38, v12                                // 000000008698: 0A181826
	v_accvgpr_read_b32 v13, a57                                // 00000000869C: D3D8400D 18000139
	v_mul_f32_e32 v13, s38, v13                                // 0000000086A4: 0A1A1A26
	v_accvgpr_read_b32 v14, a58                                // 0000000086A8: D3D8400E 1800013A
	v_mul_f32_e32 v14, s38, v14                                // 0000000086B0: 0A1C1C26
	v_accvgpr_read_b32 v15, a59                                // 0000000086B4: D3D8400F 1800013B
	v_mul_f32_e32 v15, s38, v15                                // 0000000086BC: 0A1E1E26
	v_cvt_pk_bf16_f32 v16, v8, v9                              // 0000000086C0: D2680010 00021308
	v_cvt_pk_bf16_f32 v17, v10, v11                            // 0000000086C8: D2680011 0002170A
	v_cvt_pk_bf16_f32 v18, v12, v13                            // 0000000086D0: D2680012 00021B0C
	v_cvt_pk_bf16_f32 v19, v14, v15                            // 0000000086D8: D2680013 00021F0E
	s_nop 1                                                    // 0000000086E0: BF800001
	v_permlane16_swap_b32_e32 v16, v18                         // 0000000086E4: 7E20B312
	s_nop 1                                                    // 0000000086E8: BF800001
	v_permlane16_swap_b32_e32 v17, v19                         // 0000000086EC: 7E22B313
	s_nop 1                                                    // 0000000086F0: BF800001
	buffer_store_dwordx4 v[16:19], v241, s[4:7], 0 offen       // 0000000086F4: E07C1000 800110F1
	v_add_i32 v241, v241, 64                                   // 0000000086FC: D29C00F1 000181F1
	v_accvgpr_read_b32 v8, a88                                 // 000000008704: D3D84008 18000158
	v_mul_f32_e32 v8, s38, v8                                  // 00000000870C: 0A101026
	v_accvgpr_read_b32 v9, a89                                 // 000000008710: D3D84009 18000159
	v_mul_f32_e32 v9, s38, v9                                  // 000000008718: 0A121226
	v_accvgpr_read_b32 v10, a90                                // 00000000871C: D3D8400A 1800015A
	v_mul_f32_e32 v10, s38, v10                                // 000000008724: 0A141426
	v_accvgpr_read_b32 v11, a91                                // 000000008728: D3D8400B 1800015B
	v_mul_f32_e32 v11, s38, v11                                // 000000008730: 0A161626
	v_accvgpr_read_b32 v12, a120                               // 000000008734: D3D8400C 18000178
	v_mul_f32_e32 v12, s38, v12                                // 00000000873C: 0A181826
	v_accvgpr_read_b32 v13, a121                               // 000000008740: D3D8400D 18000179
	v_mul_f32_e32 v13, s38, v13                                // 000000008748: 0A1A1A26
	v_accvgpr_read_b32 v14, a122                               // 00000000874C: D3D8400E 1800017A
	v_mul_f32_e32 v14, s38, v14                                // 000000008754: 0A1C1C26
	v_accvgpr_read_b32 v15, a123                               // 000000008758: D3D8400F 1800017B
	v_mul_f32_e32 v15, s38, v15                                // 000000008760: 0A1E1E26
	v_cvt_pk_bf16_f32 v16, v8, v9                              // 000000008764: D2680010 00021308
	v_cvt_pk_bf16_f32 v17, v10, v11                            // 00000000876C: D2680011 0002170A
	v_cvt_pk_bf16_f32 v18, v12, v13                            // 000000008774: D2680012 00021B0C
	v_cvt_pk_bf16_f32 v19, v14, v15                            // 00000000877C: D2680013 00021F0E
	s_nop 1                                                    // 000000008784: BF800001
	v_permlane16_swap_b32_e32 v16, v18                         // 000000008788: 7E20B312
	s_nop 1                                                    // 00000000878C: BF800001
	v_permlane16_swap_b32_e32 v17, v19                         // 000000008790: 7E22B313
	s_nop 1                                                    // 000000008794: BF800001
	buffer_store_dwordx4 v[16:19], v241, s[4:7], 0 offen       // 000000008798: E07C1000 800110F1
	v_add_i32 v241, v241, 64                                   // 0000000087A0: D29C00F1 000181F1
	v_accvgpr_read_b32 v8, a28                                 // 0000000087A8: D3D84008 1800011C
	v_mul_f32_e32 v8, s38, v8                                  // 0000000087B0: 0A101026
	v_accvgpr_read_b32 v9, a29                                 // 0000000087B4: D3D84009 1800011D
	v_mul_f32_e32 v9, s38, v9                                  // 0000000087BC: 0A121226
	v_accvgpr_read_b32 v10, a30                                // 0000000087C0: D3D8400A 1800011E
	v_mul_f32_e32 v10, s38, v10                                // 0000000087C8: 0A141426
	v_accvgpr_read_b32 v11, a31                                // 0000000087CC: D3D8400B 1800011F
	v_mul_f32_e32 v11, s38, v11                                // 0000000087D4: 0A161626
	v_accvgpr_read_b32 v12, a60                                // 0000000087D8: D3D8400C 1800013C
	v_mul_f32_e32 v12, s38, v12                                // 0000000087E0: 0A181826
	v_accvgpr_read_b32 v13, a61                                // 0000000087E4: D3D8400D 1800013D
	v_mul_f32_e32 v13, s38, v13                                // 0000000087EC: 0A1A1A26
	v_accvgpr_read_b32 v14, a62                                // 0000000087F0: D3D8400E 1800013E
	v_mul_f32_e32 v14, s38, v14                                // 0000000087F8: 0A1C1C26
	v_accvgpr_read_b32 v15, a63                                // 0000000087FC: D3D8400F 1800013F
	v_mul_f32_e32 v15, s38, v15                                // 000000008804: 0A1E1E26
	v_cvt_pk_bf16_f32 v16, v8, v9                              // 000000008808: D2680010 00021308
	v_cvt_pk_bf16_f32 v17, v10, v11                            // 000000008810: D2680011 0002170A
	v_cvt_pk_bf16_f32 v18, v12, v13                            // 000000008818: D2680012 00021B0C
	v_cvt_pk_bf16_f32 v19, v14, v15                            // 000000008820: D2680013 00021F0E
	s_nop 1                                                    // 000000008828: BF800001
	v_permlane16_swap_b32_e32 v16, v18                         // 00000000882C: 7E20B312
	s_nop 1                                                    // 000000008830: BF800001
	v_permlane16_swap_b32_e32 v17, v19                         // 000000008834: 7E22B313
	s_nop 1                                                    // 000000008838: BF800001
	buffer_store_dwordx4 v[16:19], v242, s[4:7], 0 offen       // 00000000883C: E07C1000 800110F2
	v_add_i32 v242, v242, 64                                   // 000000008844: D29C00F2 000181F2
	v_accvgpr_read_b32 v8, a92                                 // 00000000884C: D3D84008 1800015C
	v_mul_f32_e32 v8, s38, v8                                  // 000000008854: 0A101026
	v_accvgpr_read_b32 v9, a93                                 // 000000008858: D3D84009 1800015D
	v_mul_f32_e32 v9, s38, v9                                  // 000000008860: 0A121226
	v_accvgpr_read_b32 v10, a94                                // 000000008864: D3D8400A 1800015E
	v_mul_f32_e32 v10, s38, v10                                // 00000000886C: 0A141426
	v_accvgpr_read_b32 v11, a95                                // 000000008870: D3D8400B 1800015F
	v_mul_f32_e32 v11, s38, v11                                // 000000008878: 0A161626
	v_accvgpr_read_b32 v12, a124                               // 00000000887C: D3D8400C 1800017C
	v_mul_f32_e32 v12, s38, v12                                // 000000008884: 0A181826
	v_accvgpr_read_b32 v13, a125                               // 000000008888: D3D8400D 1800017D
	v_mul_f32_e32 v13, s38, v13                                // 000000008890: 0A1A1A26
	v_accvgpr_read_b32 v14, a126                               // 000000008894: D3D8400E 1800017E
	v_mul_f32_e32 v14, s38, v14                                // 00000000889C: 0A1C1C26
	v_accvgpr_read_b32 v15, a127                               // 0000000088A0: D3D8400F 1800017F
	v_mul_f32_e32 v15, s38, v15                                // 0000000088A8: 0A1E1E26
	v_cvt_pk_bf16_f32 v16, v8, v9                              // 0000000088AC: D2680010 00021308
	v_cvt_pk_bf16_f32 v17, v10, v11                            // 0000000088B4: D2680011 0002170A
	v_cvt_pk_bf16_f32 v18, v12, v13                            // 0000000088BC: D2680012 00021B0C
	v_cvt_pk_bf16_f32 v19, v14, v15                            // 0000000088C4: D2680013 00021F0E
	s_nop 1                                                    // 0000000088CC: BF800001
	v_permlane16_swap_b32_e32 v16, v18                         // 0000000088D0: 7E20B312
	s_nop 1                                                    // 0000000088D4: BF800001
	v_permlane16_swap_b32_e32 v17, v19                         // 0000000088D8: 7E22B313
	s_nop 1                                                    // 0000000088DC: BF800001
	buffer_store_dwordx4 v[16:19], v242, s[4:7], 0 offen       // 0000000088E0: E07C1000 800110F2
	v_add_i32 v242, v242, 64                                   // 0000000088E8: D29C00F2 000181F2
	v_accvgpr_read_b32 v8, a128                                // 0000000088F0: D3D84008 18000180
	v_mul_f32_e32 v8, s38, v8                                  // 0000000088F8: 0A101026
	v_accvgpr_read_b32 v9, a129                                // 0000000088FC: D3D84009 18000181
	v_mul_f32_e32 v9, s38, v9                                  // 000000008904: 0A121226
	v_accvgpr_read_b32 v10, a130                               // 000000008908: D3D8400A 18000182
	v_mul_f32_e32 v10, s38, v10                                // 000000008910: 0A141426
	v_accvgpr_read_b32 v11, a131                               // 000000008914: D3D8400B 18000183
	v_mul_f32_e32 v11, s38, v11                                // 00000000891C: 0A161626
	v_accvgpr_read_b32 v12, a160                               // 000000008920: D3D8400C 180001A0
	v_mul_f32_e32 v12, s38, v12                                // 000000008928: 0A181826
	v_accvgpr_read_b32 v13, a161                               // 00000000892C: D3D8400D 180001A1
	v_mul_f32_e32 v13, s38, v13                                // 000000008934: 0A1A1A26
	v_accvgpr_read_b32 v14, a162                               // 000000008938: D3D8400E 180001A2
	v_mul_f32_e32 v14, s38, v14                                // 000000008940: 0A1C1C26
	v_accvgpr_read_b32 v15, a163                               // 000000008944: D3D8400F 180001A3
	v_mul_f32_e32 v15, s38, v15                                // 00000000894C: 0A1E1E26
	v_cvt_pk_bf16_f32 v16, v8, v9                              // 000000008950: D2680010 00021308
	v_cvt_pk_bf16_f32 v17, v10, v11                            // 000000008958: D2680011 0002170A
	v_cvt_pk_bf16_f32 v18, v12, v13                            // 000000008960: D2680012 00021B0C
	v_cvt_pk_bf16_f32 v19, v14, v15                            // 000000008968: D2680013 00021F0E
	s_nop 1                                                    // 000000008970: BF800001
	v_permlane16_swap_b32_e32 v16, v18                         // 000000008974: 7E20B312
	s_nop 1                                                    // 000000008978: BF800001
	v_permlane16_swap_b32_e32 v17, v19                         // 00000000897C: 7E22B313
	s_nop 1                                                    // 000000008980: BF800001
	buffer_store_dwordx4 v[16:19], v243, s[4:7], 0 offen       // 000000008984: E07C1000 800110F3
	v_add_i32 v243, v243, 64                                   // 00000000898C: D29C00F3 000181F3
	v_accvgpr_read_b32 v8, a192                                // 000000008994: D3D84008 180001C0
	v_mul_f32_e32 v8, s38, v8                                  // 00000000899C: 0A101026
	v_accvgpr_read_b32 v9, a193                                // 0000000089A0: D3D84009 180001C1
	v_mul_f32_e32 v9, s38, v9                                  // 0000000089A8: 0A121226
	v_accvgpr_read_b32 v10, a194                               // 0000000089AC: D3D8400A 180001C2
	v_mul_f32_e32 v10, s38, v10                                // 0000000089B4: 0A141426
	v_accvgpr_read_b32 v11, a195                               // 0000000089B8: D3D8400B 180001C3
	v_mul_f32_e32 v11, s38, v11                                // 0000000089C0: 0A161626
	v_accvgpr_read_b32 v12, a224                               // 0000000089C4: D3D8400C 180001E0
	v_mul_f32_e32 v12, s38, v12                                // 0000000089CC: 0A181826
	v_accvgpr_read_b32 v13, a225                               // 0000000089D0: D3D8400D 180001E1
	v_mul_f32_e32 v13, s38, v13                                // 0000000089D8: 0A1A1A26
	v_accvgpr_read_b32 v14, a226                               // 0000000089DC: D3D8400E 180001E2
	v_mul_f32_e32 v14, s38, v14                                // 0000000089E4: 0A1C1C26
	v_accvgpr_read_b32 v15, a227                               // 0000000089E8: D3D8400F 180001E3
	v_mul_f32_e32 v15, s38, v15                                // 0000000089F0: 0A1E1E26
	v_cvt_pk_bf16_f32 v16, v8, v9                              // 0000000089F4: D2680010 00021308
	v_cvt_pk_bf16_f32 v17, v10, v11                            // 0000000089FC: D2680011 0002170A
	v_cvt_pk_bf16_f32 v18, v12, v13                            // 000000008A04: D2680012 00021B0C
	v_cvt_pk_bf16_f32 v19, v14, v15                            // 000000008A0C: D2680013 00021F0E
	s_nop 1                                                    // 000000008A14: BF800001
	v_permlane16_swap_b32_e32 v16, v18                         // 000000008A18: 7E20B312
	s_nop 1                                                    // 000000008A1C: BF800001
	v_permlane16_swap_b32_e32 v17, v19                         // 000000008A20: 7E22B313
	s_nop 1                                                    // 000000008A24: BF800001
	buffer_store_dwordx4 v[16:19], v243, s[4:7], 0 offen       // 000000008A28: E07C1000 800110F3
	v_add_i32 v243, v243, 64                                   // 000000008A30: D29C00F3 000181F3
	v_accvgpr_read_b32 v8, a132                                // 000000008A38: D3D84008 18000184
	v_mul_f32_e32 v8, s38, v8                                  // 000000008A40: 0A101026
	v_accvgpr_read_b32 v9, a133                                // 000000008A44: D3D84009 18000185
	v_mul_f32_e32 v9, s38, v9                                  // 000000008A4C: 0A121226
	v_accvgpr_read_b32 v10, a134                               // 000000008A50: D3D8400A 18000186
	v_mul_f32_e32 v10, s38, v10                                // 000000008A58: 0A141426
	v_accvgpr_read_b32 v11, a135                               // 000000008A5C: D3D8400B 18000187
	v_mul_f32_e32 v11, s38, v11                                // 000000008A64: 0A161626
	v_accvgpr_read_b32 v12, a164                               // 000000008A68: D3D8400C 180001A4
	v_mul_f32_e32 v12, s38, v12                                // 000000008A70: 0A181826
	v_accvgpr_read_b32 v13, a165                               // 000000008A74: D3D8400D 180001A5
	v_mul_f32_e32 v13, s38, v13                                // 000000008A7C: 0A1A1A26
	v_accvgpr_read_b32 v14, a166                               // 000000008A80: D3D8400E 180001A6
	v_mul_f32_e32 v14, s38, v14                                // 000000008A88: 0A1C1C26
	v_accvgpr_read_b32 v15, a167                               // 000000008A8C: D3D8400F 180001A7
	v_mul_f32_e32 v15, s38, v15                                // 000000008A94: 0A1E1E26
	v_cvt_pk_bf16_f32 v16, v8, v9                              // 000000008A98: D2680010 00021308
	v_cvt_pk_bf16_f32 v17, v10, v11                            // 000000008AA0: D2680011 0002170A
	v_cvt_pk_bf16_f32 v18, v12, v13                            // 000000008AA8: D2680012 00021B0C
	v_cvt_pk_bf16_f32 v19, v14, v15                            // 000000008AB0: D2680013 00021F0E
	s_nop 1                                                    // 000000008AB8: BF800001
	v_permlane16_swap_b32_e32 v16, v18                         // 000000008ABC: 7E20B312
	s_nop 1                                                    // 000000008AC0: BF800001
	v_permlane16_swap_b32_e32 v17, v19                         // 000000008AC4: 7E22B313
	s_nop 1                                                    // 000000008AC8: BF800001
	buffer_store_dwordx4 v[16:19], v244, s[4:7], 0 offen       // 000000008ACC: E07C1000 800110F4
	v_add_i32 v244, v244, 64                                   // 000000008AD4: D29C00F4 000181F4
	v_accvgpr_read_b32 v8, a196                                // 000000008ADC: D3D84008 180001C4
	v_mul_f32_e32 v8, s38, v8                                  // 000000008AE4: 0A101026
	v_accvgpr_read_b32 v9, a197                                // 000000008AE8: D3D84009 180001C5
	v_mul_f32_e32 v9, s38, v9                                  // 000000008AF0: 0A121226
	v_accvgpr_read_b32 v10, a198                               // 000000008AF4: D3D8400A 180001C6
	v_mul_f32_e32 v10, s38, v10                                // 000000008AFC: 0A141426
	v_accvgpr_read_b32 v11, a199                               // 000000008B00: D3D8400B 180001C7
	v_mul_f32_e32 v11, s38, v11                                // 000000008B08: 0A161626
	v_accvgpr_read_b32 v12, a228                               // 000000008B0C: D3D8400C 180001E4
	v_mul_f32_e32 v12, s38, v12                                // 000000008B14: 0A181826
	v_accvgpr_read_b32 v13, a229                               // 000000008B18: D3D8400D 180001E5
	v_mul_f32_e32 v13, s38, v13                                // 000000008B20: 0A1A1A26
	v_accvgpr_read_b32 v14, a230                               // 000000008B24: D3D8400E 180001E6
	v_mul_f32_e32 v14, s38, v14                                // 000000008B2C: 0A1C1C26
	v_accvgpr_read_b32 v15, a231                               // 000000008B30: D3D8400F 180001E7
	v_mul_f32_e32 v15, s38, v15                                // 000000008B38: 0A1E1E26
	v_cvt_pk_bf16_f32 v16, v8, v9                              // 000000008B3C: D2680010 00021308
	v_cvt_pk_bf16_f32 v17, v10, v11                            // 000000008B44: D2680011 0002170A
	v_cvt_pk_bf16_f32 v18, v12, v13                            // 000000008B4C: D2680012 00021B0C
	v_cvt_pk_bf16_f32 v19, v14, v15                            // 000000008B54: D2680013 00021F0E
	s_nop 1                                                    // 000000008B5C: BF800001
	v_permlane16_swap_b32_e32 v16, v18                         // 000000008B60: 7E20B312
	s_nop 1                                                    // 000000008B64: BF800001
	v_permlane16_swap_b32_e32 v17, v19                         // 000000008B68: 7E22B313
	s_nop 1                                                    // 000000008B6C: BF800001
	buffer_store_dwordx4 v[16:19], v244, s[4:7], 0 offen       // 000000008B70: E07C1000 800110F4
	v_add_i32 v244, v244, 64                                   // 000000008B78: D29C00F4 000181F4
	v_accvgpr_read_b32 v8, a136                                // 000000008B80: D3D84008 18000188
	v_mul_f32_e32 v8, s38, v8                                  // 000000008B88: 0A101026
	v_accvgpr_read_b32 v9, a137                                // 000000008B8C: D3D84009 18000189
	v_mul_f32_e32 v9, s38, v9                                  // 000000008B94: 0A121226
	v_accvgpr_read_b32 v10, a138                               // 000000008B98: D3D8400A 1800018A
	v_mul_f32_e32 v10, s38, v10                                // 000000008BA0: 0A141426
	v_accvgpr_read_b32 v11, a139                               // 000000008BA4: D3D8400B 1800018B
	v_mul_f32_e32 v11, s38, v11                                // 000000008BAC: 0A161626
	v_accvgpr_read_b32 v12, a168                               // 000000008BB0: D3D8400C 180001A8
	v_mul_f32_e32 v12, s38, v12                                // 000000008BB8: 0A181826
	v_accvgpr_read_b32 v13, a169                               // 000000008BBC: D3D8400D 180001A9
	v_mul_f32_e32 v13, s38, v13                                // 000000008BC4: 0A1A1A26
	v_accvgpr_read_b32 v14, a170                               // 000000008BC8: D3D8400E 180001AA
	v_mul_f32_e32 v14, s38, v14                                // 000000008BD0: 0A1C1C26
	v_accvgpr_read_b32 v15, a171                               // 000000008BD4: D3D8400F 180001AB
	v_mul_f32_e32 v15, s38, v15                                // 000000008BDC: 0A1E1E26
	v_cvt_pk_bf16_f32 v16, v8, v9                              // 000000008BE0: D2680010 00021308
	v_cvt_pk_bf16_f32 v17, v10, v11                            // 000000008BE8: D2680011 0002170A
	v_cvt_pk_bf16_f32 v18, v12, v13                            // 000000008BF0: D2680012 00021B0C
	v_cvt_pk_bf16_f32 v19, v14, v15                            // 000000008BF8: D2680013 00021F0E
	s_nop 1                                                    // 000000008C00: BF800001
	v_permlane16_swap_b32_e32 v16, v18                         // 000000008C04: 7E20B312
	s_nop 1                                                    // 000000008C08: BF800001
	v_permlane16_swap_b32_e32 v17, v19                         // 000000008C0C: 7E22B313
	s_nop 1                                                    // 000000008C10: BF800001
	buffer_store_dwordx4 v[16:19], v245, s[4:7], 0 offen       // 000000008C14: E07C1000 800110F5
	v_add_i32 v245, v245, 64                                   // 000000008C1C: D29C00F5 000181F5
	v_accvgpr_read_b32 v8, a200                                // 000000008C24: D3D84008 180001C8
	v_mul_f32_e32 v8, s38, v8                                  // 000000008C2C: 0A101026
	v_accvgpr_read_b32 v9, a201                                // 000000008C30: D3D84009 180001C9
	v_mul_f32_e32 v9, s38, v9                                  // 000000008C38: 0A121226
	v_accvgpr_read_b32 v10, a202                               // 000000008C3C: D3D8400A 180001CA
	v_mul_f32_e32 v10, s38, v10                                // 000000008C44: 0A141426
	v_accvgpr_read_b32 v11, a203                               // 000000008C48: D3D8400B 180001CB
	v_mul_f32_e32 v11, s38, v11                                // 000000008C50: 0A161626
	v_accvgpr_read_b32 v12, a232                               // 000000008C54: D3D8400C 180001E8
	v_mul_f32_e32 v12, s38, v12                                // 000000008C5C: 0A181826
	v_accvgpr_read_b32 v13, a233                               // 000000008C60: D3D8400D 180001E9
	v_mul_f32_e32 v13, s38, v13                                // 000000008C68: 0A1A1A26
	v_accvgpr_read_b32 v14, a234                               // 000000008C6C: D3D8400E 180001EA
	v_mul_f32_e32 v14, s38, v14                                // 000000008C74: 0A1C1C26
	v_accvgpr_read_b32 v15, a235                               // 000000008C78: D3D8400F 180001EB
	v_mul_f32_e32 v15, s38, v15                                // 000000008C80: 0A1E1E26
	v_cvt_pk_bf16_f32 v16, v8, v9                              // 000000008C84: D2680010 00021308
	v_cvt_pk_bf16_f32 v17, v10, v11                            // 000000008C8C: D2680011 0002170A
	v_cvt_pk_bf16_f32 v18, v12, v13                            // 000000008C94: D2680012 00021B0C
	v_cvt_pk_bf16_f32 v19, v14, v15                            // 000000008C9C: D2680013 00021F0E
	s_nop 1                                                    // 000000008CA4: BF800001
	v_permlane16_swap_b32_e32 v16, v18                         // 000000008CA8: 7E20B312
	s_nop 1                                                    // 000000008CAC: BF800001
	v_permlane16_swap_b32_e32 v17, v19                         // 000000008CB0: 7E22B313
	s_nop 1                                                    // 000000008CB4: BF800001
	buffer_store_dwordx4 v[16:19], v245, s[4:7], 0 offen       // 000000008CB8: E07C1000 800110F5
	v_add_i32 v245, v245, 64                                   // 000000008CC0: D29C00F5 000181F5
	v_accvgpr_read_b32 v8, a140                                // 000000008CC8: D3D84008 1800018C
	v_mul_f32_e32 v8, s38, v8                                  // 000000008CD0: 0A101026
	v_accvgpr_read_b32 v9, a141                                // 000000008CD4: D3D84009 1800018D
	v_mul_f32_e32 v9, s38, v9                                  // 000000008CDC: 0A121226
	v_accvgpr_read_b32 v10, a142                               // 000000008CE0: D3D8400A 1800018E
	v_mul_f32_e32 v10, s38, v10                                // 000000008CE8: 0A141426
	v_accvgpr_read_b32 v11, a143                               // 000000008CEC: D3D8400B 1800018F
	v_mul_f32_e32 v11, s38, v11                                // 000000008CF4: 0A161626
	v_accvgpr_read_b32 v12, a172                               // 000000008CF8: D3D8400C 180001AC
	v_mul_f32_e32 v12, s38, v12                                // 000000008D00: 0A181826
	v_accvgpr_read_b32 v13, a173                               // 000000008D04: D3D8400D 180001AD
	v_mul_f32_e32 v13, s38, v13                                // 000000008D0C: 0A1A1A26
	v_accvgpr_read_b32 v14, a174                               // 000000008D10: D3D8400E 180001AE
	v_mul_f32_e32 v14, s38, v14                                // 000000008D18: 0A1C1C26
	v_accvgpr_read_b32 v15, a175                               // 000000008D1C: D3D8400F 180001AF
	v_mul_f32_e32 v15, s38, v15                                // 000000008D24: 0A1E1E26
	v_cvt_pk_bf16_f32 v16, v8, v9                              // 000000008D28: D2680010 00021308
	v_cvt_pk_bf16_f32 v17, v10, v11                            // 000000008D30: D2680011 0002170A
	v_cvt_pk_bf16_f32 v18, v12, v13                            // 000000008D38: D2680012 00021B0C
	v_cvt_pk_bf16_f32 v19, v14, v15                            // 000000008D40: D2680013 00021F0E
	s_nop 1                                                    // 000000008D48: BF800001
	v_permlane16_swap_b32_e32 v16, v18                         // 000000008D4C: 7E20B312
	s_nop 1                                                    // 000000008D50: BF800001
	v_permlane16_swap_b32_e32 v17, v19                         // 000000008D54: 7E22B313
	s_nop 1                                                    // 000000008D58: BF800001
	buffer_store_dwordx4 v[16:19], v246, s[4:7], 0 offen       // 000000008D5C: E07C1000 800110F6
	v_add_i32 v246, v246, 64                                   // 000000008D64: D29C00F6 000181F6
	v_accvgpr_read_b32 v8, a204                                // 000000008D6C: D3D84008 180001CC
	v_mul_f32_e32 v8, s38, v8                                  // 000000008D74: 0A101026
	v_accvgpr_read_b32 v9, a205                                // 000000008D78: D3D84009 180001CD
	v_mul_f32_e32 v9, s38, v9                                  // 000000008D80: 0A121226
	v_accvgpr_read_b32 v10, a206                               // 000000008D84: D3D8400A 180001CE
	v_mul_f32_e32 v10, s38, v10                                // 000000008D8C: 0A141426
	v_accvgpr_read_b32 v11, a207                               // 000000008D90: D3D8400B 180001CF
	v_mul_f32_e32 v11, s38, v11                                // 000000008D98: 0A161626
	v_accvgpr_read_b32 v12, a236                               // 000000008D9C: D3D8400C 180001EC
	v_mul_f32_e32 v12, s38, v12                                // 000000008DA4: 0A181826
	v_accvgpr_read_b32 v13, a237                               // 000000008DA8: D3D8400D 180001ED
	v_mul_f32_e32 v13, s38, v13                                // 000000008DB0: 0A1A1A26
	v_accvgpr_read_b32 v14, a238                               // 000000008DB4: D3D8400E 180001EE
	v_mul_f32_e32 v14, s38, v14                                // 000000008DBC: 0A1C1C26
	v_accvgpr_read_b32 v15, a239                               // 000000008DC0: D3D8400F 180001EF
	v_mul_f32_e32 v15, s38, v15                                // 000000008DC8: 0A1E1E26
	v_cvt_pk_bf16_f32 v16, v8, v9                              // 000000008DCC: D2680010 00021308
	v_cvt_pk_bf16_f32 v17, v10, v11                            // 000000008DD4: D2680011 0002170A
	v_cvt_pk_bf16_f32 v18, v12, v13                            // 000000008DDC: D2680012 00021B0C
	v_cvt_pk_bf16_f32 v19, v14, v15                            // 000000008DE4: D2680013 00021F0E
	s_nop 1                                                    // 000000008DEC: BF800001
	v_permlane16_swap_b32_e32 v16, v18                         // 000000008DF0: 7E20B312
	s_nop 1                                                    // 000000008DF4: BF800001
	v_permlane16_swap_b32_e32 v17, v19                         // 000000008DF8: 7E22B313
	s_nop 1                                                    // 000000008DFC: BF800001
	buffer_store_dwordx4 v[16:19], v246, s[4:7], 0 offen       // 000000008E00: E07C1000 800110F6
	v_add_i32 v246, v246, 64                                   // 000000008E08: D29C00F6 000181F6
	v_accvgpr_read_b32 v8, a144                                // 000000008E10: D3D84008 18000190
	v_mul_f32_e32 v8, s38, v8                                  // 000000008E18: 0A101026
	v_accvgpr_read_b32 v9, a145                                // 000000008E1C: D3D84009 18000191
	v_mul_f32_e32 v9, s38, v9                                  // 000000008E24: 0A121226
	v_accvgpr_read_b32 v10, a146                               // 000000008E28: D3D8400A 18000192
	v_mul_f32_e32 v10, s38, v10                                // 000000008E30: 0A141426
	v_accvgpr_read_b32 v11, a147                               // 000000008E34: D3D8400B 18000193
	v_mul_f32_e32 v11, s38, v11                                // 000000008E3C: 0A161626
	v_accvgpr_read_b32 v12, a176                               // 000000008E40: D3D8400C 180001B0
	v_mul_f32_e32 v12, s38, v12                                // 000000008E48: 0A181826
	v_accvgpr_read_b32 v13, a177                               // 000000008E4C: D3D8400D 180001B1
	v_mul_f32_e32 v13, s38, v13                                // 000000008E54: 0A1A1A26
	v_accvgpr_read_b32 v14, a178                               // 000000008E58: D3D8400E 180001B2
	v_mul_f32_e32 v14, s38, v14                                // 000000008E60: 0A1C1C26
	v_accvgpr_read_b32 v15, a179                               // 000000008E64: D3D8400F 180001B3
	v_mul_f32_e32 v15, s38, v15                                // 000000008E6C: 0A1E1E26
	v_cvt_pk_bf16_f32 v16, v8, v9                              // 000000008E70: D2680010 00021308
	v_cvt_pk_bf16_f32 v17, v10, v11                            // 000000008E78: D2680011 0002170A
	v_cvt_pk_bf16_f32 v18, v12, v13                            // 000000008E80: D2680012 00021B0C
	v_cvt_pk_bf16_f32 v19, v14, v15                            // 000000008E88: D2680013 00021F0E
	s_nop 1                                                    // 000000008E90: BF800001
	v_permlane16_swap_b32_e32 v16, v18                         // 000000008E94: 7E20B312
	s_nop 1                                                    // 000000008E98: BF800001
	v_permlane16_swap_b32_e32 v17, v19                         // 000000008E9C: 7E22B313
	s_nop 1                                                    // 000000008EA0: BF800001
	buffer_store_dwordx4 v[16:19], v247, s[4:7], 0 offen       // 000000008EA4: E07C1000 800110F7
	v_add_i32 v247, v247, 64                                   // 000000008EAC: D29C00F7 000181F7
	v_accvgpr_read_b32 v8, a208                                // 000000008EB4: D3D84008 180001D0
	v_mul_f32_e32 v8, s38, v8                                  // 000000008EBC: 0A101026
	v_accvgpr_read_b32 v9, a209                                // 000000008EC0: D3D84009 180001D1
	v_mul_f32_e32 v9, s38, v9                                  // 000000008EC8: 0A121226
	v_accvgpr_read_b32 v10, a210                               // 000000008ECC: D3D8400A 180001D2
	v_mul_f32_e32 v10, s38, v10                                // 000000008ED4: 0A141426
	v_accvgpr_read_b32 v11, a211                               // 000000008ED8: D3D8400B 180001D3
	v_mul_f32_e32 v11, s38, v11                                // 000000008EE0: 0A161626
	v_accvgpr_read_b32 v12, a240                               // 000000008EE4: D3D8400C 180001F0
	v_mul_f32_e32 v12, s38, v12                                // 000000008EEC: 0A181826
	v_accvgpr_read_b32 v13, a241                               // 000000008EF0: D3D8400D 180001F1
	v_mul_f32_e32 v13, s38, v13                                // 000000008EF8: 0A1A1A26
	v_accvgpr_read_b32 v14, a242                               // 000000008EFC: D3D8400E 180001F2
	v_mul_f32_e32 v14, s38, v14                                // 000000008F04: 0A1C1C26
	v_accvgpr_read_b32 v15, a243                               // 000000008F08: D3D8400F 180001F3
	v_mul_f32_e32 v15, s38, v15                                // 000000008F10: 0A1E1E26
	v_cvt_pk_bf16_f32 v16, v8, v9                              // 000000008F14: D2680010 00021308
	v_cvt_pk_bf16_f32 v17, v10, v11                            // 000000008F1C: D2680011 0002170A
	v_cvt_pk_bf16_f32 v18, v12, v13                            // 000000008F24: D2680012 00021B0C
	v_cvt_pk_bf16_f32 v19, v14, v15                            // 000000008F2C: D2680013 00021F0E
	s_nop 1                                                    // 000000008F34: BF800001
	v_permlane16_swap_b32_e32 v16, v18                         // 000000008F38: 7E20B312
	s_nop 1                                                    // 000000008F3C: BF800001
	v_permlane16_swap_b32_e32 v17, v19                         // 000000008F40: 7E22B313
	s_nop 1                                                    // 000000008F44: BF800001
	buffer_store_dwordx4 v[16:19], v247, s[4:7], 0 offen       // 000000008F48: E07C1000 800110F7
	v_add_i32 v247, v247, 64                                   // 000000008F50: D29C00F7 000181F7
	v_accvgpr_read_b32 v8, a148                                // 000000008F58: D3D84008 18000194
	v_mul_f32_e32 v8, s38, v8                                  // 000000008F60: 0A101026
	v_accvgpr_read_b32 v9, a149                                // 000000008F64: D3D84009 18000195
	v_mul_f32_e32 v9, s38, v9                                  // 000000008F6C: 0A121226
	v_accvgpr_read_b32 v10, a150                               // 000000008F70: D3D8400A 18000196
	v_mul_f32_e32 v10, s38, v10                                // 000000008F78: 0A141426
	v_accvgpr_read_b32 v11, a151                               // 000000008F7C: D3D8400B 18000197
	v_mul_f32_e32 v11, s38, v11                                // 000000008F84: 0A161626
	v_accvgpr_read_b32 v12, a180                               // 000000008F88: D3D8400C 180001B4
	v_mul_f32_e32 v12, s38, v12                                // 000000008F90: 0A181826
	v_accvgpr_read_b32 v13, a181                               // 000000008F94: D3D8400D 180001B5
	v_mul_f32_e32 v13, s38, v13                                // 000000008F9C: 0A1A1A26
	v_accvgpr_read_b32 v14, a182                               // 000000008FA0: D3D8400E 180001B6
	v_mul_f32_e32 v14, s38, v14                                // 000000008FA8: 0A1C1C26
	v_accvgpr_read_b32 v15, a183                               // 000000008FAC: D3D8400F 180001B7
	v_mul_f32_e32 v15, s38, v15                                // 000000008FB4: 0A1E1E26
	v_cvt_pk_bf16_f32 v16, v8, v9                              // 000000008FB8: D2680010 00021308
	v_cvt_pk_bf16_f32 v17, v10, v11                            // 000000008FC0: D2680011 0002170A
	v_cvt_pk_bf16_f32 v18, v12, v13                            // 000000008FC8: D2680012 00021B0C
	v_cvt_pk_bf16_f32 v19, v14, v15                            // 000000008FD0: D2680013 00021F0E
	s_nop 1                                                    // 000000008FD8: BF800001
	v_permlane16_swap_b32_e32 v16, v18                         // 000000008FDC: 7E20B312
	s_nop 1                                                    // 000000008FE0: BF800001
	v_permlane16_swap_b32_e32 v17, v19                         // 000000008FE4: 7E22B313
	s_nop 1                                                    // 000000008FE8: BF800001
	buffer_store_dwordx4 v[16:19], v248, s[4:7], 0 offen       // 000000008FEC: E07C1000 800110F8
	v_add_i32 v248, v248, 64                                   // 000000008FF4: D29C00F8 000181F8
	v_accvgpr_read_b32 v8, a212                                // 000000008FFC: D3D84008 180001D4
	v_mul_f32_e32 v8, s38, v8                                  // 000000009004: 0A101026
	v_accvgpr_read_b32 v9, a213                                // 000000009008: D3D84009 180001D5
	v_mul_f32_e32 v9, s38, v9                                  // 000000009010: 0A121226
	v_accvgpr_read_b32 v10, a214                               // 000000009014: D3D8400A 180001D6
	v_mul_f32_e32 v10, s38, v10                                // 00000000901C: 0A141426
	v_accvgpr_read_b32 v11, a215                               // 000000009020: D3D8400B 180001D7
	v_mul_f32_e32 v11, s38, v11                                // 000000009028: 0A161626
	v_accvgpr_read_b32 v12, a244                               // 00000000902C: D3D8400C 180001F4
	v_mul_f32_e32 v12, s38, v12                                // 000000009034: 0A181826
	v_accvgpr_read_b32 v13, a245                               // 000000009038: D3D8400D 180001F5
	v_mul_f32_e32 v13, s38, v13                                // 000000009040: 0A1A1A26
	v_accvgpr_read_b32 v14, a246                               // 000000009044: D3D8400E 180001F6
	v_mul_f32_e32 v14, s38, v14                                // 00000000904C: 0A1C1C26
	v_accvgpr_read_b32 v15, a247                               // 000000009050: D3D8400F 180001F7
	v_mul_f32_e32 v15, s38, v15                                // 000000009058: 0A1E1E26
	v_cvt_pk_bf16_f32 v16, v8, v9                              // 00000000905C: D2680010 00021308
	v_cvt_pk_bf16_f32 v17, v10, v11                            // 000000009064: D2680011 0002170A
	v_cvt_pk_bf16_f32 v18, v12, v13                            // 00000000906C: D2680012 00021B0C
	v_cvt_pk_bf16_f32 v19, v14, v15                            // 000000009074: D2680013 00021F0E
	s_nop 1                                                    // 00000000907C: BF800001
	v_permlane16_swap_b32_e32 v16, v18                         // 000000009080: 7E20B312
	s_nop 1                                                    // 000000009084: BF800001
	v_permlane16_swap_b32_e32 v17, v19                         // 000000009088: 7E22B313
	s_nop 1                                                    // 00000000908C: BF800001
	buffer_store_dwordx4 v[16:19], v248, s[4:7], 0 offen       // 000000009090: E07C1000 800110F8
	v_add_i32 v248, v248, 64                                   // 000000009098: D29C00F8 000181F8
	v_accvgpr_read_b32 v8, a152                                // 0000000090A0: D3D84008 18000198
	v_mul_f32_e32 v8, s38, v8                                  // 0000000090A8: 0A101026
	v_accvgpr_read_b32 v9, a153                                // 0000000090AC: D3D84009 18000199
	v_mul_f32_e32 v9, s38, v9                                  // 0000000090B4: 0A121226
	v_accvgpr_read_b32 v10, a154                               // 0000000090B8: D3D8400A 1800019A
	v_mul_f32_e32 v10, s38, v10                                // 0000000090C0: 0A141426
	v_accvgpr_read_b32 v11, a155                               // 0000000090C4: D3D8400B 1800019B
	v_mul_f32_e32 v11, s38, v11                                // 0000000090CC: 0A161626
	v_accvgpr_read_b32 v12, a184                               // 0000000090D0: D3D8400C 180001B8
	v_mul_f32_e32 v12, s38, v12                                // 0000000090D8: 0A181826
	v_accvgpr_read_b32 v13, a185                               // 0000000090DC: D3D8400D 180001B9
	v_mul_f32_e32 v13, s38, v13                                // 0000000090E4: 0A1A1A26
	v_accvgpr_read_b32 v14, a186                               // 0000000090E8: D3D8400E 180001BA
	v_mul_f32_e32 v14, s38, v14                                // 0000000090F0: 0A1C1C26
	v_accvgpr_read_b32 v15, a187                               // 0000000090F4: D3D8400F 180001BB
	v_mul_f32_e32 v15, s38, v15                                // 0000000090FC: 0A1E1E26
	v_cvt_pk_bf16_f32 v16, v8, v9                              // 000000009100: D2680010 00021308
	v_cvt_pk_bf16_f32 v17, v10, v11                            // 000000009108: D2680011 0002170A
	v_cvt_pk_bf16_f32 v18, v12, v13                            // 000000009110: D2680012 00021B0C
	v_cvt_pk_bf16_f32 v19, v14, v15                            // 000000009118: D2680013 00021F0E
	s_nop 1                                                    // 000000009120: BF800001
	v_permlane16_swap_b32_e32 v16, v18                         // 000000009124: 7E20B312
	s_nop 1                                                    // 000000009128: BF800001
	v_permlane16_swap_b32_e32 v17, v19                         // 00000000912C: 7E22B313
	s_nop 1                                                    // 000000009130: BF800001
	buffer_store_dwordx4 v[16:19], v249, s[4:7], 0 offen       // 000000009134: E07C1000 800110F9
	v_add_i32 v249, v249, 64                                   // 00000000913C: D29C00F9 000181F9
	v_accvgpr_read_b32 v8, a216                                // 000000009144: D3D84008 180001D8
	v_mul_f32_e32 v8, s38, v8                                  // 00000000914C: 0A101026
	v_accvgpr_read_b32 v9, a217                                // 000000009150: D3D84009 180001D9
	v_mul_f32_e32 v9, s38, v9                                  // 000000009158: 0A121226
	v_accvgpr_read_b32 v10, a218                               // 00000000915C: D3D8400A 180001DA
	v_mul_f32_e32 v10, s38, v10                                // 000000009164: 0A141426
	v_accvgpr_read_b32 v11, a219                               // 000000009168: D3D8400B 180001DB
	v_mul_f32_e32 v11, s38, v11                                // 000000009170: 0A161626
	v_accvgpr_read_b32 v12, a248                               // 000000009174: D3D8400C 180001F8
	v_mul_f32_e32 v12, s38, v12                                // 00000000917C: 0A181826
	v_accvgpr_read_b32 v13, a249                               // 000000009180: D3D8400D 180001F9
	v_mul_f32_e32 v13, s38, v13                                // 000000009188: 0A1A1A26
	v_accvgpr_read_b32 v14, a250                               // 00000000918C: D3D8400E 180001FA
	v_mul_f32_e32 v14, s38, v14                                // 000000009194: 0A1C1C26
	v_accvgpr_read_b32 v15, a251                               // 000000009198: D3D8400F 180001FB
	v_mul_f32_e32 v15, s38, v15                                // 0000000091A0: 0A1E1E26
	v_cvt_pk_bf16_f32 v16, v8, v9                              // 0000000091A4: D2680010 00021308
	v_cvt_pk_bf16_f32 v17, v10, v11                            // 0000000091AC: D2680011 0002170A
	v_cvt_pk_bf16_f32 v18, v12, v13                            // 0000000091B4: D2680012 00021B0C
	v_cvt_pk_bf16_f32 v19, v14, v15                            // 0000000091BC: D2680013 00021F0E
	s_nop 1                                                    // 0000000091C4: BF800001
	v_permlane16_swap_b32_e32 v16, v18                         // 0000000091C8: 7E20B312
	s_nop 1                                                    // 0000000091CC: BF800001
	v_permlane16_swap_b32_e32 v17, v19                         // 0000000091D0: 7E22B313
	s_nop 1                                                    // 0000000091D4: BF800001
	buffer_store_dwordx4 v[16:19], v249, s[4:7], 0 offen       // 0000000091D8: E07C1000 800110F9
	v_add_i32 v249, v249, 64                                   // 0000000091E0: D29C00F9 000181F9
	v_accvgpr_read_b32 v8, a156                                // 0000000091E8: D3D84008 1800019C
	v_mul_f32_e32 v8, s38, v8                                  // 0000000091F0: 0A101026
	v_accvgpr_read_b32 v9, a157                                // 0000000091F4: D3D84009 1800019D
	v_mul_f32_e32 v9, s38, v9                                  // 0000000091FC: 0A121226
	v_accvgpr_read_b32 v10, a158                               // 000000009200: D3D8400A 1800019E
	v_mul_f32_e32 v10, s38, v10                                // 000000009208: 0A141426
	v_accvgpr_read_b32 v11, a159                               // 00000000920C: D3D8400B 1800019F
	v_mul_f32_e32 v11, s38, v11                                // 000000009214: 0A161626
	v_accvgpr_read_b32 v12, a188                               // 000000009218: D3D8400C 180001BC
	v_mul_f32_e32 v12, s38, v12                                // 000000009220: 0A181826
	v_accvgpr_read_b32 v13, a189                               // 000000009224: D3D8400D 180001BD
	v_mul_f32_e32 v13, s38, v13                                // 00000000922C: 0A1A1A26
	v_accvgpr_read_b32 v14, a190                               // 000000009230: D3D8400E 180001BE
	v_mul_f32_e32 v14, s38, v14                                // 000000009238: 0A1C1C26
	v_accvgpr_read_b32 v15, a191                               // 00000000923C: D3D8400F 180001BF
	v_mul_f32_e32 v15, s38, v15                                // 000000009244: 0A1E1E26
	v_cvt_pk_bf16_f32 v16, v8, v9                              // 000000009248: D2680010 00021308
	v_cvt_pk_bf16_f32 v17, v10, v11                            // 000000009250: D2680011 0002170A
	v_cvt_pk_bf16_f32 v18, v12, v13                            // 000000009258: D2680012 00021B0C
	v_cvt_pk_bf16_f32 v19, v14, v15                            // 000000009260: D2680013 00021F0E
	s_nop 1                                                    // 000000009268: BF800001
	v_permlane16_swap_b32_e32 v16, v18                         // 00000000926C: 7E20B312
	s_nop 1                                                    // 000000009270: BF800001
	v_permlane16_swap_b32_e32 v17, v19                         // 000000009274: 7E22B313
	s_nop 1                                                    // 000000009278: BF800001
	buffer_store_dwordx4 v[16:19], v250, s[4:7], 0 offen       // 00000000927C: E07C1000 800110FA
	v_add_i32 v250, v250, 64                                   // 000000009284: D29C00FA 000181FA
	v_accvgpr_read_b32 v8, a220                                // 00000000928C: D3D84008 180001DC
	v_mul_f32_e32 v8, s38, v8                                  // 000000009294: 0A101026
	v_accvgpr_read_b32 v9, a221                                // 000000009298: D3D84009 180001DD
	v_mul_f32_e32 v9, s38, v9                                  // 0000000092A0: 0A121226
	v_accvgpr_read_b32 v10, a222                               // 0000000092A4: D3D8400A 180001DE
	v_mul_f32_e32 v10, s38, v10                                // 0000000092AC: 0A141426
	v_accvgpr_read_b32 v11, a223                               // 0000000092B0: D3D8400B 180001DF
	v_mul_f32_e32 v11, s38, v11                                // 0000000092B8: 0A161626
	v_accvgpr_read_b32 v12, a252                               // 0000000092BC: D3D8400C 180001FC
	v_mul_f32_e32 v12, s38, v12                                // 0000000092C4: 0A181826
	v_accvgpr_read_b32 v13, a253                               // 0000000092C8: D3D8400D 180001FD
	v_mul_f32_e32 v13, s38, v13                                // 0000000092D0: 0A1A1A26
	v_accvgpr_read_b32 v14, a254                               // 0000000092D4: D3D8400E 180001FE
	v_mul_f32_e32 v14, s38, v14                                // 0000000092DC: 0A1C1C26
	v_accvgpr_read_b32 v15, a255                               // 0000000092E0: D3D8400F 180001FF
	v_mul_f32_e32 v15, s38, v15                                // 0000000092E8: 0A1E1E26
	v_cvt_pk_bf16_f32 v16, v8, v9                              // 0000000092EC: D2680010 00021308
	v_cvt_pk_bf16_f32 v17, v10, v11                            // 0000000092F4: D2680011 0002170A
	v_cvt_pk_bf16_f32 v18, v12, v13                            // 0000000092FC: D2680012 00021B0C
	v_cvt_pk_bf16_f32 v19, v14, v15                            // 000000009304: D2680013 00021F0E
	s_nop 1                                                    // 00000000930C: BF800001
	v_permlane16_swap_b32_e32 v16, v18                         // 000000009310: 7E20B312
	s_nop 1                                                    // 000000009314: BF800001
	v_permlane16_swap_b32_e32 v17, v19                         // 000000009318: 7E22B313
	s_nop 1                                                    // 00000000931C: BF800001
	buffer_store_dwordx4 v[16:19], v250, s[4:7], 0 offen       // 000000009320: E07C1000 800110FA
	v_add_i32 v250, v250, 64                                   // 000000009328: D29C00FA 000181FA

0000000000009330 <label_19CC>:
	s_waitcnt vmcnt(0) expcnt(0) lgkmcnt(0)                    // 000000009330: BF8C0000
	s_endpgm                                                   // 000000009334: BF810000
